;; amdgpu-corpus repo=ROCm/rocFFT kind=compiled arch=gfx1201 opt=O3
	.text
	.amdgcn_target "amdgcn-amd-amdhsa--gfx1201"
	.amdhsa_code_object_version 6
	.protected	fft_rtc_fwd_len150_factors_10_5_3_wgs_60_tpt_5_halfLds_sp_op_CI_CI_unitstride_sbrr_R2C_dirReg ; -- Begin function fft_rtc_fwd_len150_factors_10_5_3_wgs_60_tpt_5_halfLds_sp_op_CI_CI_unitstride_sbrr_R2C_dirReg
	.globl	fft_rtc_fwd_len150_factors_10_5_3_wgs_60_tpt_5_halfLds_sp_op_CI_CI_unitstride_sbrr_R2C_dirReg
	.p2align	8
	.type	fft_rtc_fwd_len150_factors_10_5_3_wgs_60_tpt_5_halfLds_sp_op_CI_CI_unitstride_sbrr_R2C_dirReg,@function
fft_rtc_fwd_len150_factors_10_5_3_wgs_60_tpt_5_halfLds_sp_op_CI_CI_unitstride_sbrr_R2C_dirReg: ; @fft_rtc_fwd_len150_factors_10_5_3_wgs_60_tpt_5_halfLds_sp_op_CI_CI_unitstride_sbrr_R2C_dirReg
; %bb.0:
	s_load_b128 s[8:11], s[0:1], 0x0
	v_mul_u32_u24_e32 v1, 0x3334, v0
	s_clause 0x1
	s_load_b128 s[4:7], s[0:1], 0x58
	s_load_b128 s[12:15], s[0:1], 0x18
	v_mov_b32_e32 v5, 0
	v_lshrrev_b32_e32 v3, 16, v1
	v_mov_b32_e32 v1, 0
	v_mov_b32_e32 v2, 0
	s_delay_alu instid0(VALU_DEP_3) | instskip(NEXT) | instid1(VALU_DEP_2)
	v_mad_co_u64_u32 v[3:4], null, ttmp9, 12, v[3:4]
	v_dual_mov_b32 v4, v5 :: v_dual_mov_b32 v27, v2
	s_delay_alu instid0(VALU_DEP_1) | instskip(NEXT) | instid1(VALU_DEP_3)
	v_dual_mov_b32 v26, v1 :: v_dual_mov_b32 v31, v4
	v_mov_b32_e32 v30, v3
	s_wait_kmcnt 0x0
	v_cmp_lt_u64_e64 s2, s[10:11], 2
	s_delay_alu instid0(VALU_DEP_1)
	s_and_b32 vcc_lo, exec_lo, s2
	s_cbranch_vccnz .LBB0_8
; %bb.1:
	s_load_b64 s[2:3], s[0:1], 0x10
	v_dual_mov_b32 v1, 0 :: v_dual_mov_b32 v8, v4
	v_dual_mov_b32 v2, 0 :: v_dual_mov_b32 v7, v3
	s_add_nc_u64 s[16:17], s[14:15], 8
	s_add_nc_u64 s[18:19], s[12:13], 8
	s_mov_b64 s[20:21], 1
	s_delay_alu instid0(VALU_DEP_1)
	v_dual_mov_b32 v27, v2 :: v_dual_mov_b32 v26, v1
	s_wait_kmcnt 0x0
	s_add_nc_u64 s[22:23], s[2:3], 8
	s_mov_b32 s3, 0
.LBB0_2:                                ; =>This Inner Loop Header: Depth=1
	s_load_b64 s[24:25], s[22:23], 0x0
                                        ; implicit-def: $vgpr30_vgpr31
	s_mov_b32 s2, exec_lo
	s_wait_kmcnt 0x0
	v_or_b32_e32 v6, s25, v8
	s_delay_alu instid0(VALU_DEP_1)
	v_cmpx_ne_u64_e32 0, v[5:6]
	s_wait_alu 0xfffe
	s_xor_b32 s26, exec_lo, s2
	s_cbranch_execz .LBB0_4
; %bb.3:                                ;   in Loop: Header=BB0_2 Depth=1
	s_cvt_f32_u32 s2, s24
	s_cvt_f32_u32 s27, s25
	s_sub_nc_u64 s[30:31], 0, s[24:25]
	s_wait_alu 0xfffe
	s_delay_alu instid0(SALU_CYCLE_1) | instskip(SKIP_1) | instid1(SALU_CYCLE_2)
	s_fmamk_f32 s2, s27, 0x4f800000, s2
	s_wait_alu 0xfffe
	v_s_rcp_f32 s2, s2
	s_delay_alu instid0(TRANS32_DEP_1) | instskip(SKIP_1) | instid1(SALU_CYCLE_2)
	s_mul_f32 s2, s2, 0x5f7ffffc
	s_wait_alu 0xfffe
	s_mul_f32 s27, s2, 0x2f800000
	s_wait_alu 0xfffe
	s_delay_alu instid0(SALU_CYCLE_2) | instskip(SKIP_1) | instid1(SALU_CYCLE_2)
	s_trunc_f32 s27, s27
	s_wait_alu 0xfffe
	s_fmamk_f32 s2, s27, 0xcf800000, s2
	s_cvt_u32_f32 s29, s27
	s_wait_alu 0xfffe
	s_delay_alu instid0(SALU_CYCLE_1) | instskip(SKIP_1) | instid1(SALU_CYCLE_2)
	s_cvt_u32_f32 s28, s2
	s_wait_alu 0xfffe
	s_mul_u64 s[34:35], s[30:31], s[28:29]
	s_wait_alu 0xfffe
	s_mul_hi_u32 s37, s28, s35
	s_mul_i32 s36, s28, s35
	s_mul_hi_u32 s2, s28, s34
	s_mul_i32 s33, s29, s34
	s_wait_alu 0xfffe
	s_add_nc_u64 s[36:37], s[2:3], s[36:37]
	s_mul_hi_u32 s27, s29, s34
	s_mul_hi_u32 s38, s29, s35
	s_add_co_u32 s2, s36, s33
	s_wait_alu 0xfffe
	s_add_co_ci_u32 s2, s37, s27
	s_mul_i32 s34, s29, s35
	s_add_co_ci_u32 s35, s38, 0
	s_wait_alu 0xfffe
	s_add_nc_u64 s[34:35], s[2:3], s[34:35]
	s_wait_alu 0xfffe
	v_add_co_u32 v4, s2, s28, s34
	s_delay_alu instid0(VALU_DEP_1) | instskip(SKIP_1) | instid1(VALU_DEP_1)
	s_cmp_lg_u32 s2, 0
	s_add_co_ci_u32 s29, s29, s35
	v_readfirstlane_b32 s28, v4
	s_wait_alu 0xfffe
	s_delay_alu instid0(VALU_DEP_1)
	s_mul_u64 s[30:31], s[30:31], s[28:29]
	s_wait_alu 0xfffe
	s_mul_hi_u32 s35, s28, s31
	s_mul_i32 s34, s28, s31
	s_mul_hi_u32 s2, s28, s30
	s_mul_i32 s33, s29, s30
	s_wait_alu 0xfffe
	s_add_nc_u64 s[34:35], s[2:3], s[34:35]
	s_mul_hi_u32 s27, s29, s30
	s_mul_hi_u32 s28, s29, s31
	s_wait_alu 0xfffe
	s_add_co_u32 s2, s34, s33
	s_add_co_ci_u32 s2, s35, s27
	s_mul_i32 s30, s29, s31
	s_add_co_ci_u32 s31, s28, 0
	s_wait_alu 0xfffe
	s_add_nc_u64 s[30:31], s[2:3], s[30:31]
	s_wait_alu 0xfffe
	v_add_co_u32 v4, s2, v4, s30
	s_delay_alu instid0(VALU_DEP_1) | instskip(SKIP_1) | instid1(VALU_DEP_1)
	s_cmp_lg_u32 s2, 0
	s_add_co_ci_u32 s2, s29, s31
	v_mul_hi_u32 v6, v7, v4
	s_wait_alu 0xfffe
	v_mad_co_u64_u32 v[9:10], null, v7, s2, 0
	v_mad_co_u64_u32 v[11:12], null, v8, v4, 0
	;; [unrolled: 1-line block ×3, first 2 shown]
	s_delay_alu instid0(VALU_DEP_3) | instskip(SKIP_1) | instid1(VALU_DEP_4)
	v_add_co_u32 v4, vcc_lo, v6, v9
	s_wait_alu 0xfffd
	v_add_co_ci_u32_e32 v6, vcc_lo, 0, v10, vcc_lo
	s_delay_alu instid0(VALU_DEP_2) | instskip(SKIP_1) | instid1(VALU_DEP_2)
	v_add_co_u32 v4, vcc_lo, v4, v11
	s_wait_alu 0xfffd
	v_add_co_ci_u32_e32 v4, vcc_lo, v6, v12, vcc_lo
	s_wait_alu 0xfffd
	v_add_co_ci_u32_e32 v6, vcc_lo, 0, v14, vcc_lo
	s_delay_alu instid0(VALU_DEP_2) | instskip(SKIP_1) | instid1(VALU_DEP_2)
	v_add_co_u32 v4, vcc_lo, v4, v13
	s_wait_alu 0xfffd
	v_add_co_ci_u32_e32 v6, vcc_lo, 0, v6, vcc_lo
	s_delay_alu instid0(VALU_DEP_2) | instskip(SKIP_1) | instid1(VALU_DEP_3)
	v_mul_lo_u32 v11, s25, v4
	v_mad_co_u64_u32 v[9:10], null, s24, v4, 0
	v_mul_lo_u32 v12, s24, v6
	s_delay_alu instid0(VALU_DEP_2) | instskip(NEXT) | instid1(VALU_DEP_2)
	v_sub_co_u32 v9, vcc_lo, v7, v9
	v_add3_u32 v10, v10, v12, v11
	s_delay_alu instid0(VALU_DEP_1) | instskip(SKIP_1) | instid1(VALU_DEP_1)
	v_sub_nc_u32_e32 v11, v8, v10
	s_wait_alu 0xfffd
	v_subrev_co_ci_u32_e64 v11, s2, s25, v11, vcc_lo
	v_add_co_u32 v12, s2, v4, 2
	s_wait_alu 0xf1ff
	v_add_co_ci_u32_e64 v13, s2, 0, v6, s2
	v_sub_co_u32 v14, s2, v9, s24
	v_sub_co_ci_u32_e32 v10, vcc_lo, v8, v10, vcc_lo
	s_wait_alu 0xf1ff
	v_subrev_co_ci_u32_e64 v11, s2, 0, v11, s2
	s_delay_alu instid0(VALU_DEP_3) | instskip(NEXT) | instid1(VALU_DEP_3)
	v_cmp_le_u32_e32 vcc_lo, s24, v14
	v_cmp_eq_u32_e64 s2, s25, v10
	s_wait_alu 0xfffd
	v_cndmask_b32_e64 v14, 0, -1, vcc_lo
	v_cmp_le_u32_e32 vcc_lo, s25, v11
	s_wait_alu 0xfffd
	v_cndmask_b32_e64 v15, 0, -1, vcc_lo
	v_cmp_le_u32_e32 vcc_lo, s24, v9
	;; [unrolled: 3-line block ×3, first 2 shown]
	s_wait_alu 0xfffd
	v_cndmask_b32_e64 v16, 0, -1, vcc_lo
	v_cmp_eq_u32_e32 vcc_lo, s25, v11
	s_wait_alu 0xf1ff
	s_delay_alu instid0(VALU_DEP_2)
	v_cndmask_b32_e64 v9, v16, v9, s2
	s_wait_alu 0xfffd
	v_cndmask_b32_e32 v11, v15, v14, vcc_lo
	v_add_co_u32 v14, vcc_lo, v4, 1
	s_wait_alu 0xfffd
	v_add_co_ci_u32_e32 v15, vcc_lo, 0, v6, vcc_lo
	s_delay_alu instid0(VALU_DEP_3) | instskip(SKIP_1) | instid1(VALU_DEP_2)
	v_cmp_ne_u32_e32 vcc_lo, 0, v11
	s_wait_alu 0xfffd
	v_dual_cndmask_b32 v10, v15, v13 :: v_dual_cndmask_b32 v11, v14, v12
	v_cmp_ne_u32_e32 vcc_lo, 0, v9
	s_wait_alu 0xfffd
	s_delay_alu instid0(VALU_DEP_2)
	v_dual_cndmask_b32 v31, v6, v10 :: v_dual_cndmask_b32 v30, v4, v11
.LBB0_4:                                ;   in Loop: Header=BB0_2 Depth=1
	s_wait_alu 0xfffe
	s_and_not1_saveexec_b32 s2, s26
	s_cbranch_execz .LBB0_6
; %bb.5:                                ;   in Loop: Header=BB0_2 Depth=1
	v_cvt_f32_u32_e32 v4, s24
	s_sub_co_i32 s26, 0, s24
	v_mov_b32_e32 v31, v5
	s_delay_alu instid0(VALU_DEP_2) | instskip(NEXT) | instid1(TRANS32_DEP_1)
	v_rcp_iflag_f32_e32 v4, v4
	v_mul_f32_e32 v4, 0x4f7ffffe, v4
	s_delay_alu instid0(VALU_DEP_1) | instskip(SKIP_1) | instid1(VALU_DEP_1)
	v_cvt_u32_f32_e32 v4, v4
	s_wait_alu 0xfffe
	v_mul_lo_u32 v6, s26, v4
	s_delay_alu instid0(VALU_DEP_1) | instskip(NEXT) | instid1(VALU_DEP_1)
	v_mul_hi_u32 v6, v4, v6
	v_add_nc_u32_e32 v4, v4, v6
	s_delay_alu instid0(VALU_DEP_1) | instskip(NEXT) | instid1(VALU_DEP_1)
	v_mul_hi_u32 v4, v7, v4
	v_mul_lo_u32 v6, v4, s24
	s_delay_alu instid0(VALU_DEP_1) | instskip(NEXT) | instid1(VALU_DEP_1)
	v_sub_nc_u32_e32 v6, v7, v6
	v_subrev_nc_u32_e32 v10, s24, v6
	v_cmp_le_u32_e32 vcc_lo, s24, v6
	s_wait_alu 0xfffd
	s_delay_alu instid0(VALU_DEP_2) | instskip(NEXT) | instid1(VALU_DEP_1)
	v_dual_cndmask_b32 v6, v6, v10 :: v_dual_add_nc_u32 v9, 1, v4
	v_cndmask_b32_e32 v4, v4, v9, vcc_lo
	s_delay_alu instid0(VALU_DEP_2) | instskip(NEXT) | instid1(VALU_DEP_2)
	v_cmp_le_u32_e32 vcc_lo, s24, v6
	v_add_nc_u32_e32 v9, 1, v4
	s_wait_alu 0xfffd
	s_delay_alu instid0(VALU_DEP_1)
	v_cndmask_b32_e32 v30, v4, v9, vcc_lo
.LBB0_6:                                ;   in Loop: Header=BB0_2 Depth=1
	s_wait_alu 0xfffe
	s_or_b32 exec_lo, exec_lo, s2
	v_mul_lo_u32 v4, v31, s24
	s_delay_alu instid0(VALU_DEP_2)
	v_mul_lo_u32 v6, v30, s25
	s_load_b64 s[26:27], s[18:19], 0x0
	v_mad_co_u64_u32 v[9:10], null, v30, s24, 0
	s_load_b64 s[24:25], s[16:17], 0x0
	s_add_nc_u64 s[20:21], s[20:21], 1
	s_add_nc_u64 s[16:17], s[16:17], 8
	s_wait_alu 0xfffe
	v_cmp_ge_u64_e64 s2, s[20:21], s[10:11]
	s_add_nc_u64 s[18:19], s[18:19], 8
	s_add_nc_u64 s[22:23], s[22:23], 8
	v_add3_u32 v4, v10, v6, v4
	v_sub_co_u32 v6, vcc_lo, v7, v9
	s_wait_alu 0xfffd
	s_delay_alu instid0(VALU_DEP_2) | instskip(SKIP_2) | instid1(VALU_DEP_1)
	v_sub_co_ci_u32_e32 v4, vcc_lo, v8, v4, vcc_lo
	s_and_b32 vcc_lo, exec_lo, s2
	s_wait_kmcnt 0x0
	v_mul_lo_u32 v7, s26, v4
	v_mul_lo_u32 v8, s27, v6
	v_mad_co_u64_u32 v[1:2], null, s26, v6, v[1:2]
	v_mul_lo_u32 v4, s24, v4
	v_mul_lo_u32 v9, s25, v6
	v_mad_co_u64_u32 v[26:27], null, s24, v6, v[26:27]
	s_delay_alu instid0(VALU_DEP_4) | instskip(NEXT) | instid1(VALU_DEP_2)
	v_add3_u32 v2, v8, v2, v7
	v_add3_u32 v27, v9, v27, v4
	s_wait_alu 0xfffe
	s_cbranch_vccnz .LBB0_8
; %bb.7:                                ;   in Loop: Header=BB0_2 Depth=1
	v_dual_mov_b32 v7, v30 :: v_dual_mov_b32 v8, v31
	s_branch .LBB0_2
.LBB0_8:
	s_load_b64 s[0:1], s[0:1], 0x28
	v_mul_hi_u32 v4, 0xaaaaaaab, v3
	s_lshl_b64 s[10:11], s[10:11], 3
                                        ; implicit-def: $vgpr24
                                        ; implicit-def: $vgpr28
                                        ; implicit-def: $vgpr34
                                        ; implicit-def: $vgpr37
                                        ; implicit-def: $vgpr36
                                        ; implicit-def: $vgpr33
                                        ; implicit-def: $vgpr40
                                        ; implicit-def: $vgpr32
                                        ; implicit-def: $vgpr39
                                        ; implicit-def: $vgpr38
                                        ; implicit-def: $vgpr35
	s_delay_alu instid0(VALU_DEP_1) | instskip(NEXT) | instid1(VALU_DEP_1)
	v_lshrrev_b32_e32 v4, 3, v4
	v_mul_lo_u32 v5, v4, 12
	v_mul_hi_u32 v4, 0x33333334, v0
	s_wait_kmcnt 0x0
	v_cmp_gt_u64_e32 vcc_lo, s[0:1], v[30:31]
	v_cmp_le_u64_e64 s0, s[0:1], v[30:31]
	s_delay_alu instid0(VALU_DEP_4) | instskip(NEXT) | instid1(VALU_DEP_2)
	v_sub_nc_u32_e32 v3, v3, v5
	s_and_saveexec_b32 s1, s0
	s_wait_alu 0xfffe
	s_xor_b32 s0, exec_lo, s1
	s_cbranch_execz .LBB0_10
; %bb.9:
	v_mul_u32_u24_e32 v1, 5, v4
                                        ; implicit-def: $vgpr4
	s_delay_alu instid0(VALU_DEP_1) | instskip(NEXT) | instid1(VALU_DEP_1)
	v_sub_nc_u32_e32 v24, v0, v1
                                        ; implicit-def: $vgpr0
                                        ; implicit-def: $vgpr1_vgpr2
	v_add_nc_u32_e32 v28, 5, v24
	v_add_nc_u32_e32 v34, 10, v24
	;; [unrolled: 1-line block ×4, first 2 shown]
	v_or_b32_e32 v33, 40, v24
	v_add_nc_u32_e32 v40, 15, v24
	v_add_nc_u32_e32 v32, 45, v24
	;; [unrolled: 1-line block ×4, first 2 shown]
	v_or_b32_e32 v35, 0x50, v24
.LBB0_10:
	s_wait_alu 0xfffe
	s_or_saveexec_b32 s1, s0
	v_mul_u32_u24_e32 v3, 0x97, v3
	s_add_nc_u64 s[2:3], s[14:15], s[10:11]
	s_delay_alu instid0(VALU_DEP_1)
	v_lshlrev_b32_e32 v43, 3, v3
	s_wait_alu 0xfffe
	s_xor_b32 exec_lo, exec_lo, s1
	s_cbranch_execz .LBB0_12
; %bb.11:
	s_add_nc_u64 s[10:11], s[12:13], s[10:11]
	v_lshlrev_b64_e32 v[1:2], 3, v[1:2]
	s_load_b64 s[10:11], s[10:11], 0x0
	s_wait_kmcnt 0x0
	v_mul_lo_u32 v3, s11, v30
	v_mul_lo_u32 v7, s10, v31
	v_mad_co_u64_u32 v[5:6], null, s10, v30, 0
	s_delay_alu instid0(VALU_DEP_1) | instskip(SKIP_1) | instid1(VALU_DEP_2)
	v_add3_u32 v6, v6, v7, v3
	v_mul_u32_u24_e32 v7, 5, v4
	v_lshlrev_b64_e32 v[3:4], 3, v[5:6]
	s_delay_alu instid0(VALU_DEP_2) | instskip(NEXT) | instid1(VALU_DEP_1)
	v_sub_nc_u32_e32 v24, v0, v7
	v_lshlrev_b32_e32 v25, 3, v24
	s_delay_alu instid0(VALU_DEP_3) | instskip(SKIP_1) | instid1(VALU_DEP_4)
	v_add_co_u32 v0, s0, s4, v3
	s_wait_alu 0xf1ff
	v_add_co_ci_u32_e64 v3, s0, s5, v4, s0
	v_add_nc_u32_e32 v28, 5, v24
	s_delay_alu instid0(VALU_DEP_3) | instskip(SKIP_1) | instid1(VALU_DEP_3)
	v_add_co_u32 v0, s0, v0, v1
	s_wait_alu 0xf1ff
	v_add_co_ci_u32_e64 v1, s0, v3, v2, s0
	v_add_nc_u32_e32 v34, 10, v24
	s_delay_alu instid0(VALU_DEP_3) | instskip(SKIP_1) | instid1(VALU_DEP_3)
	v_add_co_u32 v0, s0, v0, v25
	s_wait_alu 0xf1ff
	v_add_co_ci_u32_e64 v1, s0, 0, v1, s0
	s_clause 0x1d
	global_load_b64 v[2:3], v[0:1], off
	global_load_b64 v[4:5], v[0:1], off offset:40
	global_load_b64 v[6:7], v[0:1], off offset:80
	;; [unrolled: 1-line block ×29, first 2 shown]
	v_add_nc_u32_e32 v40, 15, v24
	v_add_nc_u32_e32 v39, 20, v24
	;; [unrolled: 1-line block ×4, first 2 shown]
	v_add3_u32 v25, 0, v43, v25
	v_add_nc_u32_e32 v36, 35, v24
	v_or_b32_e32 v33, 40, v24
	v_add_nc_u32_e32 v32, 45, v24
	v_or_b32_e32 v35, 0x50, v24
	s_wait_loadcnt 0x1c
	ds_store_2addr_b64 v25, v[2:3], v[4:5] offset1:5
	s_wait_loadcnt 0x1a
	ds_store_2addr_b64 v25, v[6:7], v[8:9] offset0:10 offset1:15
	s_wait_loadcnt 0x18
	ds_store_2addr_b64 v25, v[10:11], v[12:13] offset0:20 offset1:25
	;; [unrolled: 2-line block ×14, first 2 shown]
.LBB0_12:
	s_or_b32 exec_lo, exec_lo, s1
	v_lshlrev_b32_e32 v25, 3, v24
	s_load_b64 s[2:3], s[2:3], 0x0
	global_wb scope:SCOPE_SE
	s_wait_dscnt 0x0
	s_wait_kmcnt 0x0
	s_barrier_signal -1
	s_barrier_wait -1
	v_add3_u32 v29, 0, v25, v43
	global_inv scope:SCOPE_SE
	s_mov_b32 s1, exec_lo
	ds_load_2addr_b64 v[4:7], v29 offset0:15 offset1:20
	ds_load_2addr_b64 v[60:63], v29 offset0:45 offset1:50
	ds_load_2addr_b64 v[68:71], v29 offset0:75 offset1:80
	ds_load_2addr_b64 v[76:79], v29 offset0:105 offset1:110
	ds_load_2addr_b64 v[20:23], v29 offset0:135 offset1:140
	ds_load_2addr_b64 v[0:3], v29 offset0:5 offset1:10
	ds_load_2addr_b64 v[12:15], v29 offset0:35 offset1:40
	ds_load_2addr_b64 v[16:19], v29 offset0:65 offset1:70
	ds_load_2addr_b64 v[8:11], v29 offset0:95 offset1:100
	s_wait_dscnt 0x7
	v_add_f32_e32 v46, v4, v60
	s_wait_dscnt 0x6
	v_dual_sub_f32 v47, v60, v68 :: v_dual_sub_f32 v50, v61, v69
	s_wait_dscnt 0x4
	v_dual_sub_f32 v48, v20, v76 :: v_dual_add_f32 v49, v5, v61
	v_sub_f32_e32 v53, v76, v20
	v_sub_f32_e32 v41, v69, v77
	v_dual_sub_f32 v45, v60, v20 :: v_dual_add_f32 v58, v6, v62
	s_delay_alu instid0(VALU_DEP_4)
	v_add_f32_e32 v54, v49, v69
	v_dual_sub_f32 v57, v77, v21 :: v_dual_add_f32 v46, v46, v68
	s_wait_dscnt 0x0
	v_add_f32_e32 v49, v16, v8
	v_dual_add_f32 v75, v68, v76 :: v_dual_add_f32 v72, v69, v77
	v_add_f32_e32 v54, v54, v77
	v_add_f32_e32 v56, v0, v12
	v_dual_sub_f32 v42, v61, v21 :: v_dual_add_f32 v95, v60, v20
	v_add_f32_e32 v64, v61, v21
	v_dual_sub_f32 v52, v68, v60 :: v_dual_sub_f32 v51, v21, v77
	v_dual_sub_f32 v44, v68, v76 :: v_dual_sub_f32 v55, v69, v61
	v_dual_add_f32 v59, v46, v76 :: v_dual_sub_f32 v46, v17, v9
	v_add_f32_e32 v69, v54, v21
	v_dual_add_f32 v81, v56, v16 :: v_dual_add_f32 v56, v58, v70
	v_dual_sub_f32 v54, v12, v16 :: v_dual_add_f32 v21, v7, v63
	s_delay_alu instid0(VALU_DEP_4) | instskip(NEXT) | instid1(VALU_DEP_3)
	v_dual_add_f32 v68, v59, v20 :: v_dual_add_f32 v65, v1, v13
	v_add_f32_e32 v66, v56, v78
	v_dual_add_f32 v97, v70, v78 :: v_dual_sub_f32 v20, v71, v79
	s_delay_alu instid0(VALU_DEP_4)
	v_add_f32_e32 v59, v21, v71
	v_dual_sub_f32 v61, v62, v70 :: v_dual_add_f32 v82, v71, v79
	v_dual_sub_f32 v85, v70, v62 :: v_dual_sub_f32 v60, v63, v71
	v_dual_sub_f32 v21, v70, v78 :: v_dual_sub_f32 v58, v63, v23
	;; [unrolled: 1-line block ×3, first 2 shown]
	v_dual_add_f32 v83, v62, v22 :: v_dual_add_f32 v84, v63, v23
	v_dual_sub_f32 v63, v22, v78 :: v_dual_sub_f32 v62, v23, v79
	v_dual_sub_f32 v86, v78, v22 :: v_dual_add_f32 v67, v59, v79
	v_dual_sub_f32 v90, v79, v23 :: v_dual_sub_f32 v59, v16, v12
	ds_load_2addr_b64 v[77:80], v29 offset0:125 offset1:130
	v_dual_add_f32 v98, v17, v9 :: v_dual_add_f32 v99, v66, v22
	v_dual_add_f32 v22, v2, v14 :: v_dual_add_f32 v87, v65, v17
	v_add_f32_e32 v100, v67, v23
	v_dual_add_f32 v23, v3, v15 :: v_dual_sub_f32 v74, v16, v8
	s_delay_alu instid0(VALU_DEP_3) | instskip(SKIP_2) | instid1(VALU_DEP_4)
	v_dual_sub_f32 v101, v13, v17 :: v_dual_add_f32 v16, v22, v18
	v_sub_f32_e32 v65, v19, v11
	v_fma_f32 v110, -0.5, v83, v6
	v_dual_sub_f32 v102, v17, v13 :: v_dual_add_f32 v17, v23, v19
	s_delay_alu instid0(VALU_DEP_4)
	v_dual_add_f32 v91, v16, v10 :: v_dual_add_nc_u32 v16, 0, v43
	v_dual_add_f32 v71, v18, v10 :: v_dual_sub_f32 v22, v15, v19
	v_sub_f32_e32 v67, v14, v18
	v_dual_sub_f32 v66, v18, v14 :: v_dual_add_f32 v23, v19, v11
	s_wait_dscnt 0x0
	v_dual_sub_f32 v107, v8, v77 :: v_dual_sub_f32 v18, v18, v10
	v_dual_sub_f32 v19, v19, v15 :: v_dual_sub_f32 v76, v13, v78
	v_add_f32_e32 v103, v12, v77
	v_dual_sub_f32 v104, v12, v77 :: v_dual_add_f32 v105, v13, v78
	v_sub_f32_e32 v70, v15, v80
	v_dual_sub_f32 v12, v14, v79 :: v_dual_add_f32 v13, v15, v80
	v_dual_add_f32 v81, v81, v8 :: v_dual_sub_f32 v108, v78, v9
	v_sub_f32_e32 v15, v79, v10
	v_fmamk_f32 v113, v20, 0xbf737871, v110
	v_dual_fmac_f32 v110, 0x3f737871, v20 :: v_dual_add_f32 v87, v87, v9
	v_dual_add_f32 v96, v17, v11 :: v_dual_add_nc_u32 v17, v16, v25
	v_dual_add_f32 v73, v14, v79 :: v_dual_sub_f32 v106, v77, v8
	v_dual_sub_f32 v14, v10, v79 :: v_dual_add_f32 v111, v81, v77
	s_delay_alu instid0(VALU_DEP_4)
	v_add_f32_e32 v114, v87, v78
	v_fma_f32 v112, -0.5, v82, v7
	v_dual_fmac_f32 v7, -0.5, v84 :: v_dual_add_f32 v8, v91, v79
	v_fmac_f32_e32 v110, 0xbf167918, v58
	ds_load_2addr_b64 v[81:84], v29 offset0:25 offset1:30
	ds_load_b64 v[93:94], v17
	v_fma_f32 v72, -0.5, v72, v5
	v_fma_f32 v5, -0.5, v64, v5
	;; [unrolled: 1-line block ×3, first 2 shown]
	v_dual_sub_f32 v109, v9, v78 :: v_dual_sub_f32 v10, v80, v11
	v_dual_sub_f32 v11, v11, v80 :: v_dual_fmamk_f32 v116, v21, 0x3f737871, v7
	v_fma_f32 v43, -0.5, v75, v4
	v_fma_f32 v4, -0.5, v95, v4
	;; [unrolled: 1-line block ×3, first 2 shown]
	s_delay_alu instid0(VALU_DEP_4)
	v_dual_add_f32 v15, v67, v15 :: v_dual_fmac_f32 v116, 0xbf167918, v56
	v_add_f32_e32 v14, v66, v14
	v_add_f32_e32 v10, v22, v10
	s_wait_dscnt 0x0
	v_add_f32_e32 v118, v93, v83
	v_add_f32_e32 v115, v85, v86
	ds_load_2addr_b64 v[85:88], v29 offset0:55 offset1:60
	s_wait_dscnt 0x0
	v_dual_add_f32 v6, v118, v87 :: v_dual_add_f32 v117, v89, v90
	v_fmac_f32_e32 v110, 0x3e9e377a, v115
	ds_load_2addr_b64 v[89:92], v29 offset0:85 offset1:90
	v_fmac_f32_e32 v7, 0xbf737871, v21
	v_dual_add_f32 v119, v94, v84 :: v_dual_add_f32 v118, v81, v85
	v_sub_f32_e32 v132, v83, v87
	s_delay_alu instid0(VALU_DEP_2) | instskip(SKIP_4) | instid1(VALU_DEP_2)
	v_dual_fmac_f32 v116, 0x3e9e377a, v117 :: v_dual_add_f32 v97, v119, v88
	s_wait_dscnt 0x0
	v_dual_add_f32 v119, v82, v86 :: v_dual_add_f32 v124, v88, v92
	v_dual_add_f32 v6, v6, v91 :: v_dual_fmac_f32 v7, 0x3f167918, v56
	v_dual_sub_f32 v128, v85, v89 :: v_dual_sub_f32 v121, v88, v92
	v_fmac_f32_e32 v7, 0x3e9e377a, v117
	v_add_f32_e32 v9, v96, v80
	ds_load_2addr_b64 v[77:80], v29 offset0:115 offset1:120
	ds_load_b64 v[95:96], v29 offset:1160
	v_dual_mul_f32 v75, 0x3e9e377a, v110 :: v_dual_mul_f32 v120, 0x3e9e377a, v7
	v_sub_f32_e32 v129, v89, v85
	v_sub_f32_e32 v131, v86, v90
	global_wb scope:SCOPE_SE
	s_wait_dscnt 0x0
	s_barrier_signal -1
	s_barrier_wait -1
	global_inv scope:SCOPE_SE
	v_sub_f32_e32 v122, v79, v91
	v_fma_f32 v75, 0x3f737871, v7, -v75
	v_dual_add_f32 v7, v97, v92 :: v_dual_add_f32 v130, v90, v78
	v_dual_add_f32 v97, v118, v89 :: v_dual_add_f32 v118, v119, v90
	v_add_f32_e32 v119, v87, v91
	v_sub_f32_e32 v123, v91, v79
	v_dual_sub_f32 v91, v87, v91 :: v_dual_sub_f32 v134, v86, v96
	v_dual_sub_f32 v127, v90, v78 :: v_dual_sub_f32 v138, v84, v80
	v_sub_f32_e32 v90, v90, v86
	v_add_f32_e32 v86, v86, v96
	v_add_f32_e32 v126, v89, v77
	v_dual_sub_f32 v89, v89, v77 :: v_dual_add_f32 v118, v118, v78
	v_sub_f32_e32 v133, v84, v88
	v_fma_f32 v130, -0.5, v130, v82
	v_dual_fmac_f32 v82, -0.5, v86 :: v_dual_sub_f32 v125, v80, v92
	v_add_f32_e32 v136, v6, v79
	v_dual_sub_f32 v92, v92, v80 :: v_dual_add_f32 v135, v85, v95
	v_dual_sub_f32 v140, v96, v78 :: v_dual_add_f32 v137, v7, v80
	v_dual_add_f32 v97, v97, v77 :: v_dual_add_f32 v6, v83, v79
	v_sub_f32_e32 v79, v83, v79
	v_sub_f32_e32 v139, v95, v77
	v_fmamk_f32 v141, v89, 0x3f737871, v82
	v_dual_fmac_f32 v82, 0xbf737871, v89 :: v_dual_sub_f32 v7, v77, v95
	v_sub_f32_e32 v77, v78, v96
	v_dual_sub_f32 v85, v85, v95 :: v_dual_sub_f32 v88, v88, v84
	v_dual_sub_f32 v87, v87, v83 :: v_dual_add_f32 v80, v84, v80
	s_delay_alu instid0(VALU_DEP_3) | instskip(SKIP_1) | instid1(VALU_DEP_4)
	v_add_f32_e32 v86, v90, v77
	v_fma_f32 v90, -0.5, v135, v81
	v_dual_fmac_f32 v82, 0x3f167918, v85 :: v_dual_add_f32 v129, v129, v7
	v_fma_f32 v126, -0.5, v126, v81
	v_fma_f32 v81, -0.5, v124, v94
	v_fmac_f32_e32 v94, -0.5, v80
	v_dual_fmamk_f32 v135, v127, 0xbf737871, v90 :: v_dual_add_f32 v78, v88, v92
	v_fmac_f32_e32 v90, 0x3f737871, v127
	v_fma_f32 v6, -0.5, v6, v93
	v_dual_fmac_f32 v82, 0x3e9e377a, v86 :: v_dual_add_f32 v77, v87, v123
	v_add_f32_e32 v80, v52, v53
	s_delay_alu instid0(VALU_DEP_4) | instskip(NEXT) | instid1(VALU_DEP_4)
	v_fmac_f32_e32 v90, 0xbf167918, v134
	v_fmamk_f32 v87, v121, 0xbf737871, v6
	v_fmac_f32_e32 v6, 0x3f737871, v121
	v_dual_add_f32 v53, v137, v69 :: v_dual_add_f32 v92, v47, v48
	s_delay_alu instid0(VALU_DEP_4) | instskip(SKIP_1) | instid1(VALU_DEP_4)
	v_fmac_f32_e32 v90, 0x3e9e377a, v129
	v_fmamk_f32 v47, v42, 0x3f737871, v43
	v_fmac_f32_e32 v6, 0xbf167918, v138
	v_mul_f32_e32 v143, 0x3e9e377a, v82
	v_add_f32_e32 v88, v132, v122
	v_mul_f32_e32 v7, 0x3e9e377a, v90
	v_fmamk_f32 v48, v45, 0xbf737871, v72
	v_fmac_f32_e32 v72, 0x3f737871, v45
	v_fma_f32 v84, -0.5, v119, v93
	v_add_f32_e32 v93, v50, v51
	v_fma_f32 v142, 0x3f737871, v82, -v7
	v_fmamk_f32 v82, v41, 0xbf737871, v4
	v_fmac_f32_e32 v4, 0x3f737871, v41
	v_add_f32_e32 v55, v55, v57
	v_fmamk_f32 v57, v44, 0x3f737871, v5
	v_fmac_f32_e32 v5, 0xbf737871, v44
	v_fmac_f32_e32 v6, 0x3e9e377a, v77
	;; [unrolled: 1-line block ×3, first 2 shown]
	v_fmamk_f32 v83, v91, 0x3f737871, v94
	v_fmac_f32_e32 v94, 0xbf737871, v91
	v_dual_fmac_f32 v5, 0x3f167918, v45 :: v_dual_fmac_f32 v72, 0x3f167918, v44
	s_delay_alu instid0(VALU_DEP_4) | instskip(SKIP_1) | instid1(VALU_DEP_4)
	v_fmac_f32_e32 v4, 0x3e9e377a, v80
	v_fmac_f32_e32 v82, 0x3f167918, v42
	;; [unrolled: 1-line block ×3, first 2 shown]
	s_delay_alu instid0(VALU_DEP_4) | instskip(NEXT) | instid1(VALU_DEP_4)
	v_dual_fmac_f32 v5, 0x3e9e377a, v55 :: v_dual_fmac_f32 v72, 0x3e9e377a, v93
	v_mul_f32_e32 v7, 0x3e9e377a, v4
	s_delay_alu instid0(VALU_DEP_4) | instskip(NEXT) | instid1(VALU_DEP_4)
	v_fmac_f32_e32 v82, 0x3e9e377a, v80
	v_fmac_f32_e32 v94, 0x3e9e377a, v78
	;; [unrolled: 1-line block ×4, first 2 shown]
	v_fma_f32 v52, 0x3f737871, v5, -v7
	v_mul_f32_e32 v5, 0x3e9e377a, v5
	v_mul_f32_e32 v44, 0xbf737871, v82
	v_fmac_f32_e32 v43, 0xbf167918, v41
	v_fmac_f32_e32 v135, 0x3f167918, v134
	v_sub_f32_e32 v69, v137, v69
	v_fma_f32 v4, 0xbf737871, v4, -v5
	s_delay_alu instid0(VALU_DEP_4) | instskip(NEXT) | instid1(VALU_DEP_2)
	v_fmac_f32_e32 v43, 0x3e9e377a, v92
	v_add_f32_e32 v5, v94, v4
	v_dual_sub_f32 v7, v94, v4 :: v_dual_add_f32 v94, v133, v125
	v_add_f32_e32 v4, v6, v52
	v_sub_f32_e32 v6, v6, v52
	v_dual_add_f32 v52, v136, v68 :: v_dual_fmac_f32 v87, 0x3f167918, v138
	v_fmac_f32_e32 v83, 0xbf167918, v79
	v_mul_f32_e32 v42, 0x3f4f1bbd, v43
	s_delay_alu instid0(VALU_DEP_2) | instskip(SKIP_2) | instid1(VALU_DEP_2)
	v_dual_sub_f32 v68, v136, v68 :: v_dual_fmac_f32 v83, 0x3e9e377a, v78
	v_fmac_f32_e32 v57, 0xbf167918, v45
	v_mul_f32_e32 v45, 0x3f4f1bbd, v72
	v_fmac_f32_e32 v57, 0x3e9e377a, v55
	s_delay_alu instid0(VALU_DEP_2) | instskip(NEXT) | instid1(VALU_DEP_2)
	v_fma_f32 v45, 0xbf167918, v43, -v45
	v_mul_f32_e32 v55, 0x3f737871, v57
	v_fmac_f32_e32 v44, 0x3e9e377a, v57
	v_fmamk_f32 v119, v138, 0x3f737871, v84
	v_fma_f32 v57, 0x3f167918, v72, -v42
	v_add_f32_e32 v72, v60, v62
	v_fmac_f32_e32 v55, 0x3e9e377a, v82
	v_fmac_f32_e32 v84, 0xbf737871, v138
	v_dual_add_f32 v42, v83, v44 :: v_dual_fmac_f32 v119, 0x3f167918, v121
	v_fmac_f32_e32 v48, 0x3e9e377a, v93
	v_fmamk_f32 v62, v76, 0x3f737871, v49
	s_delay_alu instid0(VALU_DEP_4)
	v_fmac_f32_e32 v84, 0xbf167918, v121
	v_fmac_f32_e32 v87, 0x3e9e377a, v77
	v_fmac_f32_e32 v119, 0x3e9e377a, v88
	v_fmac_f32_e32 v47, 0x3f167918, v41
	v_fma_f32 v93, -0.5, v105, v1
	v_fmac_f32_e32 v84, 0x3e9e377a, v88
	v_fmamk_f32 v122, v79, 0xbf737871, v81
	v_fmac_f32_e32 v81, 0x3f737871, v79
	v_add_f32_e32 v41, v87, v55
	v_sub_f32_e32 v43, v87, v55
	v_add_f32_e32 v77, v84, v57
	v_fmamk_f32 v55, v58, 0x3f737871, v64
	v_fmac_f32_e32 v81, 0x3f167918, v91
	v_dual_fmac_f32 v64, 0xbf737871, v58 :: v_dual_fmac_f32 v49, 0xbf737871, v76
	v_dual_fmac_f32 v122, 0xbf167918, v91 :: v_dual_sub_f32 v79, v84, v57
	v_fmac_f32_e32 v62, 0x3f167918, v46
	s_delay_alu instid0(VALU_DEP_4) | instskip(SKIP_2) | instid1(VALU_DEP_3)
	v_dual_fmac_f32 v81, 0x3e9e377a, v94 :: v_dual_add_f32 v88, v101, v108
	v_fmamk_f32 v57, v56, 0xbf737871, v112
	v_fmac_f32_e32 v112, 0x3f737871, v56
	v_dual_fmac_f32 v113, 0x3f167918, v58 :: v_dual_add_f32 v78, v81, v45
	v_dual_sub_f32 v80, v81, v45 :: v_dual_add_f32 v81, v111, v99
	v_dual_add_f32 v45, v61, v63 :: v_dual_fmac_f32 v64, 0xbf167918, v20
	v_fmac_f32_e32 v49, 0xbf167918, v46
	v_dual_fmac_f32 v47, 0x3e9e377a, v92 :: v_dual_fmac_f32 v122, 0x3e9e377a, v94
	v_sub_f32_e32 v44, v83, v44
	v_dual_add_f32 v59, v59, v107 :: v_dual_fmamk_f32 v94, v74, 0x3f737871, v93
	v_fmac_f32_e32 v112, 0x3f167918, v21
	v_dual_fmac_f32 v113, 0x3e9e377a, v115 :: v_dual_fmac_f32 v64, 0x3e9e377a, v45
	v_dual_add_f32 v83, v54, v106 :: v_dual_sub_f32 v54, v111, v99
	s_delay_alu instid0(VALU_DEP_4) | instskip(SKIP_1) | instid1(VALU_DEP_3)
	v_dual_fmac_f32 v57, 0xbf167918, v21 :: v_dual_fmac_f32 v94, 0xbf167918, v104
	v_fmac_f32_e32 v93, 0xbf737871, v74
	v_fmac_f32_e32 v62, 0x3e9e377a, v83
	v_fmac_f32_e32 v55, 0x3f167918, v20
	s_delay_alu instid0(VALU_DEP_4)
	v_fmac_f32_e32 v57, 0x3e9e377a, v72
	v_fma_f32 v84, -0.5, v98, v1
	v_fma_f32 v92, -0.5, v103, v0
	v_add_f32_e32 v98, v102, v109
	v_fmac_f32_e32 v55, 0x3e9e377a, v45
	v_mul_f32_e32 v99, 0x3f737871, v116
	v_fmac_f32_e32 v93, 0x3f167918, v104
	v_fmac_f32_e32 v112, 0x3e9e377a, v72
	v_fma_f32 v56, 0xbf737871, v110, -v120
	v_mul_f32_e32 v63, 0x3f4f1bbd, v55
	v_mul_f32_e32 v91, 0xbf167918, v55
	v_fmac_f32_e32 v99, 0x3e9e377a, v113
	v_dual_fmac_f32 v93, 0x3e9e377a, v98 :: v_dual_add_f32 v82, v114, v100
	s_delay_alu instid0(VALU_DEP_4) | instskip(NEXT) | instid1(VALU_DEP_4)
	v_fmac_f32_e32 v63, 0x3f167918, v57
	v_fmac_f32_e32 v91, 0x3f4f1bbd, v57
	v_fmamk_f32 v57, v46, 0xbf737871, v92
	v_fmac_f32_e32 v92, 0x3f737871, v46
	v_sub_f32_e32 v46, v93, v56
	v_dual_sub_f32 v55, v114, v100 :: v_dual_fmac_f32 v94, 0x3e9e377a, v98
	s_delay_alu instid0(VALU_DEP_4) | instskip(SKIP_4) | instid1(VALU_DEP_4)
	v_fmac_f32_e32 v57, 0x3f167918, v76
	v_mul_f32_e32 v100, 0xbf737871, v113
	v_fmac_f32_e32 v92, 0xbf167918, v76
	v_mul_f32_e32 v21, 0x3f4f1bbd, v64
	v_mul_f32_e32 v45, 0x3f4f1bbd, v112
	v_dual_fmac_f32 v57, 0x3e9e377a, v59 :: v_dual_fmac_f32 v100, 0x3e9e377a, v116
	s_delay_alu instid0(VALU_DEP_4) | instskip(SKIP_2) | instid1(VALU_DEP_4)
	v_fmac_f32_e32 v92, 0x3e9e377a, v59
	v_fmac_f32_e32 v49, 0x3e9e377a, v83
	v_fma_f32 v59, 0x3f167918, v112, -v21
	v_dual_add_f32 v0, v57, v99 :: v_dual_fmamk_f32 v87, v104, 0xbf737871, v84
	v_add_f32_e32 v60, v62, v63
	v_sub_f32_e32 v62, v62, v63
	v_sub_f32_e32 v58, v94, v100
	v_fmac_f32_e32 v84, 0x3f737871, v104
	v_dual_fmac_f32 v87, 0xbf167918, v74 :: v_dual_add_f32 v20, v92, v75
	v_add_f32_e32 v1, v94, v100
	v_fma_f32 v64, 0xbf167918, v64, -v45
	s_delay_alu instid0(VALU_DEP_4) | instskip(NEXT) | instid1(VALU_DEP_4)
	v_fmac_f32_e32 v84, 0x3f167918, v74
	v_dual_add_f32 v74, v49, v59 :: v_dual_fmac_f32 v87, 0x3e9e377a, v88
	v_sub_f32_e32 v83, v49, v59
	v_fma_f32 v49, -0.5, v71, v2
	s_delay_alu instid0(VALU_DEP_4) | instskip(NEXT) | instid1(VALU_DEP_4)
	v_dual_fmac_f32 v84, 0x3e9e377a, v88 :: v_dual_sub_f32 v57, v57, v99
	v_add_f32_e32 v61, v87, v91
	v_sub_f32_e32 v63, v87, v91
	v_sub_f32_e32 v45, v92, v75
	s_delay_alu instid0(VALU_DEP_4)
	v_add_f32_e32 v75, v84, v64
	v_sub_f32_e32 v84, v84, v64
	v_fmamk_f32 v64, v70, 0x3f737871, v49
	v_fma_f32 v71, -0.5, v23, v3
	v_fmac_f32_e32 v3, -0.5, v13
	v_fma_f32 v2, -0.5, v73, v2
	v_fmac_f32_e32 v49, 0xbf737871, v70
	v_dual_fmac_f32 v64, 0x3f167918, v65 :: v_dual_add_f32 v59, v118, v96
	s_delay_alu instid0(VALU_DEP_4) | instskip(SKIP_2) | instid1(VALU_DEP_3)
	v_fmamk_f32 v72, v18, 0x3f737871, v3
	v_mul_f32_e32 v51, 0xbf167918, v47
	v_mul_f32_e32 v50, 0x3f4f1bbd, v47
	v_fmac_f32_e32 v72, 0xbf167918, v12
	s_delay_alu instid0(VALU_DEP_3)
	v_fmac_f32_e32 v51, 0x3f4f1bbd, v48
	v_dual_fmac_f32 v64, 0x3e9e377a, v15 :: v_dual_add_f32 v21, v93, v56
	v_fmac_f32_e32 v135, 0x3e9e377a, v129
	v_fmamk_f32 v67, v65, 0xbf737871, v2
	v_fmac_f32_e32 v2, 0x3f737871, v65
	v_add_f32_e32 v56, v97, v95
	v_fmac_f32_e32 v50, 0x3f167918, v48
	v_mul_f32_e32 v76, 0xbf737871, v135
	v_add_f32_e32 v48, v122, v51
	v_dual_fmac_f32 v2, 0xbf167918, v70 :: v_dual_sub_f32 v51, v122, v51
	s_delay_alu instid0(VALU_DEP_4) | instskip(SKIP_1) | instid1(VALU_DEP_3)
	v_add_f32_e32 v47, v119, v50
	v_sub_f32_e32 v50, v119, v50
	v_fmac_f32_e32 v2, 0x3e9e377a, v14
	v_fmac_f32_e32 v141, 0xbf167918, v85
	s_delay_alu instid0(VALU_DEP_1)
	v_fmac_f32_e32 v141, 0x3e9e377a, v86
	v_fmamk_f32 v13, v134, 0x3f737871, v126
	v_fmac_f32_e32 v126, 0xbf737871, v134
	v_fmac_f32_e32 v49, 0xbf167918, v65
	v_fmamk_f32 v65, v12, 0xbf737871, v71
	v_fmac_f32_e32 v71, 0x3f737871, v12
	s_delay_alu instid0(VALU_DEP_2) | instskip(NEXT) | instid1(VALU_DEP_2)
	v_dual_fmac_f32 v126, 0xbf167918, v127 :: v_dual_fmac_f32 v65, 0xbf167918, v18
	v_fmac_f32_e32 v71, 0x3f167918, v18
	s_delay_alu instid0(VALU_DEP_2) | instskip(NEXT) | instid1(VALU_DEP_2)
	v_fmac_f32_e32 v65, 0x3e9e377a, v10
	v_fmac_f32_e32 v71, 0x3e9e377a, v10
	v_dual_fmamk_f32 v10, v85, 0xbf737871, v130 :: v_dual_fmac_f32 v3, 0xbf737871, v18
	v_fmac_f32_e32 v130, 0x3f737871, v85
	v_fmac_f32_e32 v67, 0x3f167918, v70
	v_mul_f32_e32 v70, 0x3f737871, v141
	v_fmac_f32_e32 v13, 0x3f167918, v127
	v_dual_fmac_f32 v3, 0x3f167918, v12 :: v_dual_add_f32 v12, v128, v139
	v_fmac_f32_e32 v49, 0x3e9e377a, v15
	v_fmac_f32_e32 v10, 0xbf167918, v89
	;; [unrolled: 1-line block ×6, first 2 shown]
	v_add_f32_e32 v11, v19, v11
	v_fma_f32 v12, 0xbf737871, v90, -v143
	s_delay_alu instid0(VALU_DEP_3) | instskip(NEXT) | instid1(VALU_DEP_3)
	v_mul_f32_e32 v66, 0x3f4f1bbd, v13
	v_dual_fmac_f32 v67, 0x3e9e377a, v14 :: v_dual_fmac_f32 v72, 0x3e9e377a, v11
	v_fmac_f32_e32 v3, 0x3e9e377a, v11
	v_add_f32_e32 v11, v131, v140
	s_delay_alu instid0(VALU_DEP_3) | instskip(SKIP_1) | instid1(VALU_DEP_3)
	v_dual_add_f32 v18, v67, v70 :: v_dual_mul_f32 v73, 0xbf167918, v13
	v_mul_f32_e32 v13, 0x3f4f1bbd, v126
	v_fmac_f32_e32 v10, 0x3e9e377a, v11
	v_fmac_f32_e32 v130, 0x3e9e377a, v11
	s_delay_alu instid0(VALU_DEP_2) | instskip(NEXT) | instid1(VALU_DEP_2)
	v_fmac_f32_e32 v66, 0x3f167918, v10
	v_fma_f32 v85, 0x3f167918, v130, -v13
	v_mul_f32_e32 v15, 0x3f4f1bbd, v130
	s_delay_alu instid0(VALU_DEP_3) | instskip(NEXT) | instid1(VALU_DEP_3)
	v_dual_add_f32 v13, v9, v59 :: v_dual_add_f32 v14, v64, v66
	v_add_f32_e32 v22, v49, v85
	v_sub_f32_e32 v64, v64, v66
	v_sub_f32_e32 v66, v67, v70
	;; [unrolled: 1-line block ×3, first 2 shown]
	v_mul_u32_u24_e32 v49, 10, v24
	v_dual_fmac_f32 v76, 0x3e9e377a, v141 :: v_dual_add_f32 v11, v3, v12
	v_sub_f32_e32 v3, v3, v12
	v_add_f32_e32 v12, v8, v56
	v_sub_f32_e32 v8, v8, v56
	v_lshl_add_u32 v49, v49, 3, v16
	v_mul_i32_i24_e32 v56, 10, v28
	v_fmac_f32_e32 v73, 0x3f4f1bbd, v10
	ds_store_2addr_b64 v49, v[52:53], v[47:48] offset1:1
	ds_store_2addr_b64 v49, v[41:42], v[4:5] offset0:2 offset1:3
	v_lshl_add_u32 v4, v56, 3, v16
	v_mul_i32_i24_e32 v5, 10, v34
	ds_store_2addr_b64 v49, v[77:78], v[68:69] offset0:4 offset1:5
	ds_store_2addr_b64 v49, v[50:51], v[43:44] offset0:6 offset1:7
	;; [unrolled: 1-line block ×3, first 2 shown]
	ds_store_2addr_b64 v4, v[81:82], v[60:61] offset1:1
	ds_store_2addr_b64 v4, v[0:1], v[20:21] offset0:2 offset1:3
	v_dual_mov_b32 v1, 0 :: v_dual_lshlrev_b32 v0, 2, v24
	v_fma_f32 v86, 0xbf167918, v126, -v15
	v_add_f32_e32 v15, v65, v73
	v_lshl_add_u32 v41, v5, 3, v16
	v_dual_add_f32 v10, v2, v142 :: v_dual_add_f32 v19, v72, v76
	ds_store_2addr_b64 v4, v[74:75], v[54:55] offset0:4 offset1:5
	ds_store_2addr_b64 v4, v[62:63], v[57:58] offset0:6 offset1:7
	;; [unrolled: 1-line block ×3, first 2 shown]
	ds_store_2addr_b64 v41, v[12:13], v[14:15] offset1:1
	ds_store_2addr_b64 v41, v[18:19], v[10:11] offset0:2 offset1:3
	v_lshlrev_b64_e32 v[4:5], 3, v[0:1]
	v_lshlrev_b32_e32 v0, 2, v28
	v_and_b32_e32 v14, 0xff, v38
	v_add_f32_e32 v23, v71, v86
	v_sub_f32_e32 v65, v65, v73
	v_sub_f32_e32 v67, v72, v76
	v_lshlrev_b64_e32 v[6:7], 3, v[0:1]
	v_and_b32_e32 v0, 0xff, v39
	v_mul_lo_u16 v14, 0xcd, v14
	v_add_co_u32 v10, s0, s8, v4
	s_wait_alu 0xf1ff
	v_add_co_ci_u32_e64 v11, s0, s9, v5, s0
	v_mul_lo_u16 v0, 0xcd, v0
	v_lshrrev_b16 v14, 11, v14
	v_sub_f32_e32 v2, v2, v142
	v_sub_f32_e32 v71, v71, v86
	v_add_co_u32 v12, s0, s8, v6
	v_lshrrev_b16 v0, 11, v0
	v_mul_lo_u16 v14, v14, 10
	s_wait_alu 0xf1ff
	v_add_co_ci_u32_e64 v13, s0, s9, v7, s0
	s_delay_alu instid0(VALU_DEP_3) | instskip(NEXT) | instid1(VALU_DEP_1)
	v_mul_lo_u16 v0, v0, 10
	v_sub_nc_u16 v0, v39, v0
	s_delay_alu instid0(VALU_DEP_1) | instskip(SKIP_1) | instid1(VALU_DEP_2)
	v_and_b32_e32 v45, 0xff, v0
	v_sub_nc_u16 v0, v38, v14
	v_lshlrev_b32_e32 v14, 5, v45
	s_delay_alu instid0(VALU_DEP_2) | instskip(NEXT) | instid1(VALU_DEP_1)
	v_dual_sub_f32 v9, v9, v59 :: v_dual_and_b32 v44, 0xff, v0
	v_lshlrev_b32_e32 v0, 5, v44
	ds_store_2addr_b64 v41, v[22:23], v[8:9] offset0:4 offset1:5
	ds_store_2addr_b64 v41, v[64:65], v[66:67] offset0:6 offset1:7
	;; [unrolled: 1-line block ×3, first 2 shown]
	global_wb scope:SCOPE_SE
	s_wait_dscnt 0x0
	s_barrier_signal -1
	s_barrier_wait -1
	global_inv scope:SCOPE_SE
	s_clause 0x7
	global_load_b128 v[2:5], v[10:11], off offset:16
	global_load_b128 v[18:21], v14, s[8:9]
	global_load_b128 v[6:9], v[12:13], off offset:16
	global_load_b128 v[48:51], v0, s[8:9]
	global_load_b128 v[75:78], v14, s[8:9] offset:16
	global_load_b128 v[79:82], v0, s[8:9] offset:16
	global_load_b128 v[87:90], v[10:11], off
	global_load_b128 v[91:94], v[12:13], off
	ds_load_2addr_b64 v[12:15], v29 offset0:90 offset1:95
	ds_load_2addr_b64 v[52:55], v29 offset0:120 offset1:125
	;; [unrolled: 1-line block ×7, first 2 shown]
	v_lshl_add_u32 v23, v28, 3, v16
	v_lshl_add_u32 v22, v40, 3, v16
	v_mad_i32_i24 v41, 0xffffffb8, v34, v41
	s_wait_loadcnt_dscnt 0x706
	v_mul_f32_e32 v0, v13, v3
	s_wait_dscnt 0x5
	v_mul_f32_e32 v74, v52, v5
	v_dual_mul_f32 v73, v12, v3 :: v_dual_mul_f32 v10, v53, v5
	s_wait_loadcnt 0x5
	v_mul_f32_e32 v69, v14, v7
	v_fma_f32 v12, v12, v2, -v0
	v_mul_f32_e32 v0, v15, v7
	v_fmac_f32_e32 v74, v53, v4
	s_wait_dscnt 0x3
	v_dual_fmac_f32 v73, v13, v2 :: v_dual_mul_f32 v66, v83, v5
	v_fma_f32 v13, v52, v4, -v10
	v_fma_f32 v71, v14, v6, -v0
	v_mul_f32_e32 v0, v55, v9
	v_mul_f32_e32 v10, v57, v3
	v_dual_mul_f32 v65, v56, v3 :: v_dual_mul_f32 v62, v85, v9
	v_fmac_f32_e32 v66, v84, v4
	s_delay_alu instid0(VALU_DEP_4) | instskip(SKIP_4) | instid1(VALU_DEP_4)
	v_fma_f32 v72, v54, v8, -v0
	v_dual_mul_f32 v0, v84, v5 :: v_dual_fmac_f32 v69, v15, v6
	v_fma_f32 v67, v56, v2, -v10
	v_fmac_f32_e32 v65, v57, v2
	v_mul_f32_e32 v61, v58, v7
	v_fma_f32 v68, v83, v4, -v0
	ds_load_2addr_b64 v[2:5], v29 offset0:110 offset1:115
	v_mul_f32_e32 v0, v59, v7
	v_mul_f32_e32 v70, v54, v9
	;; [unrolled: 1-line block ×3, first 2 shown]
	v_dual_fmac_f32 v61, v59, v6 :: v_dual_fmac_f32 v62, v86, v8
	s_delay_alu instid0(VALU_DEP_4)
	v_fma_f32 v63, v58, v6, -v0
	s_wait_dscnt 0x3
	v_mul_f32_e32 v0, v96, v19
	s_wait_dscnt 0x2
	v_mul_f32_e32 v6, v100, v21
	v_mul_f32_e32 v54, v99, v21
	v_fmac_f32_e32 v70, v55, v8
	v_fma_f32 v64, v85, v8, -v7
	v_mul_f32_e32 v53, v95, v19
	v_fma_f32 v55, v95, v18, -v0
	v_fmac_f32_e32 v54, v100, v20
	v_fma_f32 v56, v99, v20, -v6
	s_wait_loadcnt_dscnt 0x301
	v_dual_mul_f32 v6, v98, v49 :: v_dual_mul_f32 v11, v104, v78
	v_dual_mul_f32 v0, v97, v49 :: v_dual_mul_f32 v7, v102, v51
	s_wait_dscnt 0x0
	v_dual_mul_f32 v46, v101, v51 :: v_dual_mul_f32 v57, v2, v76
	v_lshl_add_u32 v20, v37, 3, v16
	v_dual_mul_f32 v10, v3, v76 :: v_dual_fmac_f32 v53, v96, v18
	v_fma_f32 v47, v97, v48, -v6
	s_delay_alu instid0(VALU_DEP_4)
	v_dual_fmac_f32 v0, v98, v48 :: v_dual_fmac_f32 v57, v3, v75
	v_fma_f32 v48, v101, v50, -v7
	s_wait_loadcnt 0x2
	v_dual_fmac_f32 v46, v102, v50 :: v_dual_mul_f32 v49, v4, v80
	ds_load_2addr_b64 v[6:9], v29 offset0:60 offset1:65
	ds_load_b64 v[14:15], v20
	v_mul_f32_e32 v58, v103, v78
	v_lshl_add_u32 v18, v33, 3, v16
	v_fmac_f32_e32 v49, v5, v79
	v_mul_f32_e32 v3, v106, v82
	v_fma_f32 v59, v2, v75, -v10
	v_mul_f32_e32 v2, v5, v80
	v_lshl_add_u32 v19, v36, 3, v16
	v_fma_f32 v60, v103, v77, -v11
	v_fmac_f32_e32 v58, v104, v77
	ds_load_b64 v[42:43], v18
	v_fma_f32 v51, v4, v79, -v2
	v_fma_f32 v52, v105, v81, -v3
	ds_load_b64 v[2:3], v23
	ds_load_b64 v[95:96], v19
	ds_load_b64 v[10:11], v17
	ds_load_2addr_b64 v[75:78], v29 offset0:70 offset1:75
	v_lshl_add_u32 v21, v32, 3, v16
	s_wait_loadcnt_dscnt 0x106
	v_mul_f32_e32 v85, v6, v90
	ds_load_b64 v[97:98], v21
	v_mul_f32_e32 v50, v105, v82
	s_wait_loadcnt_dscnt 0x6
	v_dual_mul_f32 v4, v15, v88 :: v_dual_mul_f32 v5, v9, v94
	v_dual_mul_f32 v79, v8, v94 :: v_dual_mul_f32 v84, v14, v88
	v_fmac_f32_e32 v85, v7, v89
	v_fmac_f32_e32 v50, v106, v81
	s_delay_alu instid0(VALU_DEP_4)
	v_fma_f32 v86, v8, v93, -v5
	s_wait_dscnt 0x5
	v_dual_fmac_f32 v79, v9, v93 :: v_dual_mul_f32 v8, v43, v88
	v_fma_f32 v14, v14, v87, -v4
	v_mul_f32_e32 v4, v7, v90
	s_wait_dscnt 0x1
	v_dual_mul_f32 v80, v42, v88 :: v_dual_mul_f32 v81, v75, v90
	v_dual_mul_f32 v9, v76, v90 :: v_dual_fmac_f32 v84, v15, v87
	v_add_f32_e32 v90, v85, v73
	s_delay_alu instid0(VALU_DEP_3) | instskip(NEXT) | instid1(VALU_DEP_3)
	v_fmac_f32_e32 v81, v76, v89
	v_fma_f32 v83, v75, v89, -v9
	v_mul_f32_e32 v75, v77, v94
	v_fma_f32 v82, v42, v87, -v8
	v_mul_f32_e32 v8, v78, v94
	v_fmac_f32_e32 v80, v43, v87
	v_mul_f32_e32 v87, v95, v92
	v_fmac_f32_e32 v75, v78, v93
	s_wait_dscnt 0x0
	v_mul_f32_e32 v9, v98, v92
	v_fma_f32 v15, v6, v89, -v4
	v_fma_f32 v76, v77, v93, -v8
	v_mul_f32_e32 v77, v97, v92
	v_mul_f32_e32 v8, v96, v92
	v_dual_fmac_f32 v87, v96, v91 :: v_dual_sub_f32 v42, v13, v12
	v_dual_add_f32 v89, v15, v12 :: v_dual_sub_f32 v92, v74, v73
	s_delay_alu instid0(VALU_DEP_4) | instskip(NEXT) | instid1(VALU_DEP_4)
	v_fmac_f32_e32 v77, v98, v91
	v_fma_f32 v88, v95, v91, -v8
	v_add_f32_e32 v8, v10, v14
	v_fma_f32 v78, v97, v91, -v9
	v_dual_add_f32 v43, v11, v84 :: v_dual_sub_f32 v94, v84, v74
	v_sub_f32_e32 v9, v14, v15
	s_delay_alu instid0(VALU_DEP_4) | instskip(SKIP_4) | instid1(VALU_DEP_4)
	v_add_f32_e32 v91, v8, v15
	v_fma_f32 v8, -0.5, v89, v10
	v_sub_f32_e32 v96, v85, v73
	v_sub_f32_e32 v95, v14, v13
	v_dual_add_f32 v93, v9, v42 :: v_dual_add_f32 v42, v43, v85
	v_fmamk_f32 v89, v94, 0x3f737871, v8
	v_add_f32_e32 v99, v14, v13
	v_fma_f32 v9, -0.5, v90, v11
	s_delay_alu instid0(VALU_DEP_4) | instskip(SKIP_1) | instid1(VALU_DEP_4)
	v_dual_sub_f32 v97, v15, v12 :: v_dual_add_f32 v42, v42, v73
	v_sub_f32_e32 v43, v84, v85
	v_fma_f32 v10, -0.5, v99, v10
	v_add_f32_e32 v99, v84, v74
	v_dual_fmac_f32 v89, 0x3f167918, v96 :: v_dual_sub_f32 v100, v15, v14
	v_sub_f32_e32 v101, v12, v13
	v_sub_f32_e32 v73, v73, v74
	s_delay_alu instid0(VALU_DEP_4)
	v_fmac_f32_e32 v11, -0.5, v99
	v_dual_sub_f32 v99, v85, v84 :: v_dual_fmamk_f32 v84, v96, 0xbf737871, v10
	v_fmac_f32_e32 v10, 0x3f737871, v96
	v_add_f32_e32 v100, v100, v101
	v_add_f32_e32 v98, v43, v92
	v_add_f32_e32 v92, v42, v74
	v_fmac_f32_e32 v84, 0x3f167918, v94
	v_dual_fmamk_f32 v85, v97, 0x3f737871, v11 :: v_dual_sub_f32 v74, v88, v86
	v_dual_fmac_f32 v11, 0xbf737871, v97 :: v_dual_fmac_f32 v8, 0xbf737871, v94
	v_dual_fmac_f32 v10, 0xbf167918, v94 :: v_dual_add_f32 v73, v99, v73
	s_delay_alu instid0(VALU_DEP_3) | instskip(NEXT) | instid1(VALU_DEP_3)
	v_fmac_f32_e32 v85, 0xbf167918, v95
	v_fmac_f32_e32 v11, 0x3f167918, v95
	v_fmamk_f32 v90, v95, 0xbf737871, v9
	v_add_f32_e32 v91, v91, v12
	v_dual_fmac_f32 v89, 0x3e9e377a, v93 :: v_dual_fmac_f32 v84, 0x3e9e377a, v100
	v_lshl_add_u32 v43, v39, 3, v16
	v_fmac_f32_e32 v10, 0x3e9e377a, v100
	v_fmac_f32_e32 v8, 0xbf167918, v96
	;; [unrolled: 1-line block ×4, first 2 shown]
	v_add_f32_e32 v73, v86, v71
	v_lshl_add_u32 v42, v38, 3, v16
	v_fmac_f32_e32 v8, 0x3e9e377a, v93
	ds_load_b64 v[4:5], v22
	ds_load_b64 v[6:7], v41
	v_fmac_f32_e32 v90, 0xbf167918, v97
	v_add_f32_e32 v91, v91, v13
	ds_load_b64 v[14:15], v43
	ds_load_b64 v[12:13], v42
	global_wb scope:SCOPE_SE
	s_wait_dscnt 0x0
	s_barrier_signal -1
	v_fmac_f32_e32 v90, 0x3e9e377a, v98
	s_barrier_wait -1
	global_inv scope:SCOPE_SE
	ds_store_2addr_b64 v29, v[84:85], v[10:11] offset0:20 offset1:30
	v_fma_f32 v10, -0.5, v73, v2
	v_dual_sub_f32 v84, v72, v71 :: v_dual_sub_f32 v85, v79, v69
	v_sub_f32_e32 v11, v87, v70
	ds_store_2addr_b64 v29, v[91:92], v[89:90] offset1:10
	v_dual_fmac_f32 v9, 0x3f737871, v95 :: v_dual_add_f32 v74, v74, v84
	v_dual_add_f32 v84, v88, v72 :: v_dual_fmamk_f32 v73, v11, 0x3f737871, v10
	v_fmac_f32_e32 v10, 0xbf737871, v11
	v_sub_f32_e32 v90, v71, v72
	s_delay_alu instid0(VALU_DEP_2) | instskip(NEXT) | instid1(VALU_DEP_4)
	v_dual_fmac_f32 v10, 0xbf167918, v85 :: v_dual_add_f32 v89, v2, v88
	v_fma_f32 v2, -0.5, v84, v2
	v_add_f32_e32 v84, v3, v87
	s_delay_alu instid0(VALU_DEP_3) | instskip(NEXT) | instid1(VALU_DEP_4)
	v_fmac_f32_e32 v10, 0x3e9e377a, v74
	v_add_f32_e32 v89, v89, v86
	s_delay_alu instid0(VALU_DEP_3) | instskip(SKIP_2) | instid1(VALU_DEP_3)
	v_dual_add_f32 v91, v84, v79 :: v_dual_fmamk_f32 v84, v85, 0xbf737871, v2
	v_fmac_f32_e32 v73, 0x3f167918, v85
	v_fmac_f32_e32 v2, 0x3f737871, v85
	;; [unrolled: 1-line block ×3, first 2 shown]
	s_delay_alu instid0(VALU_DEP_3) | instskip(NEXT) | instid1(VALU_DEP_1)
	v_dual_fmac_f32 v73, 0x3e9e377a, v74 :: v_dual_sub_f32 v74, v86, v88
	v_dual_fmac_f32 v9, 0x3f167918, v97 :: v_dual_add_f32 v92, v74, v90
	s_delay_alu instid0(VALU_DEP_1) | instskip(NEXT) | instid1(VALU_DEP_2)
	v_dual_fmac_f32 v9, 0x3e9e377a, v98 :: v_dual_add_f32 v74, v91, v69
	v_dual_add_f32 v85, v89, v71 :: v_dual_fmac_f32 v84, 0x3e9e377a, v92
	s_delay_alu instid0(VALU_DEP_2) | instskip(NEXT) | instid1(VALU_DEP_2)
	v_add_f32_e32 v90, v74, v70
	v_dual_fmac_f32 v2, 0xbf167918, v11 :: v_dual_add_f32 v89, v85, v72
	v_dual_add_f32 v11, v79, v69 :: v_dual_sub_f32 v72, v88, v72
	v_sub_f32_e32 v74, v87, v79
	s_delay_alu instid0(VALU_DEP_3) | instskip(NEXT) | instid1(VALU_DEP_3)
	v_dual_sub_f32 v79, v79, v87 :: v_dual_fmac_f32 v2, 0x3e9e377a, v92
	v_fma_f32 v11, -0.5, v11, v3
	v_sub_f32_e32 v85, v70, v69
	v_add_f32_e32 v91, v87, v70
	v_sub_f32_e32 v69, v69, v70
	v_dual_sub_f32 v71, v86, v71 :: v_dual_sub_f32 v88, v83, v82
	s_delay_alu instid0(VALU_DEP_3) | instskip(NEXT) | instid1(VALU_DEP_3)
	v_dual_add_f32 v86, v74, v85 :: v_dual_fmac_f32 v3, -0.5, v91
	v_add_f32_e32 v70, v79, v69
	v_fmamk_f32 v74, v72, 0xbf737871, v11
	v_fmac_f32_e32 v11, 0x3f737871, v72
	v_sub_f32_e32 v91, v67, v68
	v_fmamk_f32 v85, v71, 0x3f737871, v3
	v_fmac_f32_e32 v3, 0xbf737871, v71
	v_fmac_f32_e32 v74, 0xbf167918, v71
	v_add_f32_e32 v69, v83, v67
	s_delay_alu instid0(VALU_DEP_4) | instskip(NEXT) | instid1(VALU_DEP_4)
	v_dual_add_f32 v88, v88, v91 :: v_dual_fmac_f32 v85, 0xbf167918, v72
	v_dual_fmac_f32 v3, 0x3f167918, v72 :: v_dual_sub_f32 v72, v80, v66
	v_fmac_f32_e32 v11, 0x3f167918, v71
	v_fmac_f32_e32 v74, 0x3e9e377a, v86
	s_delay_alu instid0(VALU_DEP_4) | instskip(NEXT) | instid1(VALU_DEP_4)
	v_fmac_f32_e32 v85, 0x3e9e377a, v70
	v_fmac_f32_e32 v3, 0x3e9e377a, v70
	v_add_f32_e32 v70, v6, v82
	v_fmac_f32_e32 v11, 0x3e9e377a, v86
	v_sub_f32_e32 v79, v82, v83
	v_sub_f32_e32 v86, v68, v67
	v_fma_f32 v69, -0.5, v69, v6
	v_dual_add_f32 v70, v70, v83 :: v_dual_sub_f32 v87, v81, v65
	v_add_f32_e32 v92, v80, v66
	s_delay_alu instid0(VALU_DEP_2) | instskip(SKIP_3) | instid1(VALU_DEP_3)
	v_dual_add_f32 v70, v70, v67 :: v_dual_add_f32 v79, v79, v86
	v_dual_add_f32 v86, v82, v68 :: v_dual_sub_f32 v67, v83, v67
	v_sub_f32_e32 v91, v66, v65
	v_sub_f32_e32 v83, v75, v61
	v_fma_f32 v6, -0.5, v86, v6
	v_dual_add_f32 v86, v7, v80 :: v_dual_fmamk_f32 v71, v72, 0x3f737871, v69
	s_delay_alu instid0(VALU_DEP_1) | instskip(NEXT) | instid1(VALU_DEP_2)
	v_dual_fmac_f32 v69, 0xbf737871, v72 :: v_dual_add_f32 v86, v86, v81
	v_fmac_f32_e32 v71, 0x3f167918, v87
	s_delay_alu instid0(VALU_DEP_2) | instskip(NEXT) | instid1(VALU_DEP_2)
	v_fmac_f32_e32 v69, 0xbf167918, v87
	v_fmac_f32_e32 v71, 0x3e9e377a, v79
	s_delay_alu instid0(VALU_DEP_2) | instskip(SKIP_3) | instid1(VALU_DEP_3)
	v_fmac_f32_e32 v69, 0x3e9e377a, v79
	v_fmamk_f32 v79, v87, 0xbf737871, v6
	v_dual_fmac_f32 v6, 0x3f737871, v87 :: v_dual_add_f32 v87, v86, v65
	v_add_f32_e32 v86, v70, v68
	v_dual_add_f32 v70, v81, v65 :: v_dual_fmac_f32 v79, 0x3f167918, v72
	s_delay_alu instid0(VALU_DEP_3) | instskip(SKIP_2) | instid1(VALU_DEP_4)
	v_fmac_f32_e32 v6, 0xbf167918, v72
	v_sub_f32_e32 v72, v80, v81
	v_sub_f32_e32 v68, v82, v68
	v_fma_f32 v70, -0.5, v70, v7
	v_fmac_f32_e32 v7, -0.5, v92
	v_sub_f32_e32 v81, v81, v80
	v_dual_sub_f32 v65, v65, v66 :: v_dual_fmac_f32 v6, 0x3e9e377a, v88
	ds_store_b64 v29, v[8:9] offset:320
	ds_store_2addr_b64 v23, v[89:90], v[73:74] offset1:10
	ds_store_2addr_b64 v23, v[84:85], v[2:3] offset0:20 offset1:30
	v_fmamk_f32 v80, v67, 0x3f737871, v7
	v_add_f32_e32 v82, v72, v91
	v_fmamk_f32 v72, v68, 0xbf737871, v70
	v_fmac_f32_e32 v70, 0x3f737871, v68
	ds_store_b64 v23, v[10:11] offset:320
	v_dual_fmac_f32 v80, 0xbf167918, v68 :: v_dual_add_f32 v87, v87, v66
	v_fmac_f32_e32 v72, 0xbf167918, v67
	v_fmac_f32_e32 v70, 0x3f167918, v67
	;; [unrolled: 1-line block ×3, first 2 shown]
	v_dual_fmac_f32 v79, 0x3e9e377a, v88 :: v_dual_sub_f32 v88, v76, v78
	s_delay_alu instid0(VALU_DEP_4) | instskip(SKIP_3) | instid1(VALU_DEP_3)
	v_fmac_f32_e32 v72, 0x3e9e377a, v82
	v_dual_add_f32 v66, v81, v65 :: v_dual_add_f32 v65, v76, v63
	v_dual_fmac_f32 v70, 0x3e9e377a, v82 :: v_dual_sub_f32 v81, v78, v76
	v_sub_f32_e32 v82, v64, v63
	v_fmac_f32_e32 v80, 0x3e9e377a, v66
	s_delay_alu instid0(VALU_DEP_4) | instskip(SKIP_1) | instid1(VALU_DEP_4)
	v_fma_f32 v65, -0.5, v65, v4
	v_lshl_add_u32 v2, v35, 3, v16
	v_dual_add_f32 v81, v81, v82 :: v_dual_add_f32 v82, v78, v64
	v_dual_fmac_f32 v7, 0x3f167918, v68 :: v_dual_sub_f32 v68, v77, v62
	s_delay_alu instid0(VALU_DEP_1) | instskip(NEXT) | instid1(VALU_DEP_2)
	v_fmac_f32_e32 v7, 0x3e9e377a, v66
	v_fmamk_f32 v67, v68, 0x3f737871, v65
	v_add_f32_e32 v66, v4, v78
	v_fma_f32 v4, -0.5, v82, v4
	v_dual_add_f32 v82, v5, v77 :: v_dual_fmac_f32 v65, 0xbf737871, v68
	v_sub_f32_e32 v91, v63, v64
	s_delay_alu instid0(VALU_DEP_4) | instskip(NEXT) | instid1(VALU_DEP_3)
	v_add_f32_e32 v66, v66, v76
	v_add_f32_e32 v82, v82, v75
	v_fmac_f32_e32 v67, 0x3f167918, v83
	v_fmac_f32_e32 v65, 0xbf167918, v83
	s_delay_alu instid0(VALU_DEP_4) | instskip(NEXT) | instid1(VALU_DEP_4)
	v_add_f32_e32 v66, v66, v63
	v_dual_sub_f32 v63, v76, v63 :: v_dual_add_f32 v82, v82, v61
	s_delay_alu instid0(VALU_DEP_4) | instskip(NEXT) | instid1(VALU_DEP_4)
	v_fmac_f32_e32 v67, 0x3e9e377a, v81
	v_fmac_f32_e32 v65, 0x3e9e377a, v81
	v_fmamk_f32 v81, v83, 0xbf737871, v4
	v_fmac_f32_e32 v4, 0x3f737871, v83
	v_dual_add_f32 v83, v88, v91 :: v_dual_add_f32 v92, v82, v62
	s_delay_alu instid0(VALU_DEP_3) | instskip(SKIP_1) | instid1(VALU_DEP_4)
	v_dual_sub_f32 v82, v62, v61 :: v_dual_fmac_f32 v81, 0x3f167918, v68
	v_add_f32_e32 v88, v77, v62
	v_fmac_f32_e32 v4, 0xbf167918, v68
	v_dual_sub_f32 v68, v77, v75 :: v_dual_add_f32 v91, v66, v64
	v_add_f32_e32 v66, v75, v61
	v_dual_sub_f32 v64, v78, v64 :: v_dual_fmac_f32 v81, 0x3e9e377a, v83
	s_delay_alu instid0(VALU_DEP_3) | instskip(SKIP_1) | instid1(VALU_DEP_4)
	v_add_f32_e32 v76, v68, v82
	v_fmac_f32_e32 v4, 0x3e9e377a, v83
	v_fma_f32 v66, -0.5, v66, v5
	v_fmac_f32_e32 v5, -0.5, v88
	v_sub_f32_e32 v75, v75, v77
	v_dual_sub_f32 v77, v54, v57 :: v_dual_sub_f32 v78, v56, v55
	s_delay_alu instid0(VALU_DEP_4) | instskip(SKIP_3) | instid1(VALU_DEP_4)
	v_fmamk_f32 v68, v64, 0xbf737871, v66
	v_dual_fmac_f32 v66, 0x3f737871, v64 :: v_dual_sub_f32 v61, v61, v62
	v_fmamk_f32 v82, v63, 0x3f737871, v5
	v_fmac_f32_e32 v5, 0xbf737871, v63
	v_fmac_f32_e32 v68, 0xbf167918, v63
	v_add_f32_e32 v88, v53, v58
	v_dual_add_f32 v62, v75, v61 :: v_dual_add_f32 v61, v56, v59
	v_fmac_f32_e32 v82, 0xbf167918, v64
	v_dual_fmac_f32 v66, 0x3f167918, v63 :: v_dual_fmac_f32 v5, 0x3f167918, v64
	v_sub_f32_e32 v64, v53, v58
	s_delay_alu instid0(VALU_DEP_4) | instskip(SKIP_1) | instid1(VALU_DEP_4)
	v_fma_f32 v61, -0.5, v61, v14
	v_sub_f32_e32 v75, v55, v56
	v_dual_fmac_f32 v68, 0x3e9e377a, v76 :: v_dual_fmac_f32 v5, 0x3e9e377a, v62
	ds_store_2addr_b64 v29, v[86:87], v[71:72] offset0:50 offset1:60
	ds_store_b64 v29, v[79:80] offset:560
	ds_store_b64 v2, v[6:7]
	ds_store_b64 v29, v[69:70] offset:720
	v_fmamk_f32 v63, v64, 0x3f737871, v61
	v_fmac_f32_e32 v61, 0xbf737871, v64
	v_lshl_add_u32 v2, v45, 3, v16
	s_delay_alu instid0(VALU_DEP_3) | instskip(SKIP_4) | instid1(VALU_DEP_3)
	v_fmac_f32_e32 v63, 0x3f167918, v77
	v_fmac_f32_e32 v66, 0x3e9e377a, v76
	v_sub_f32_e32 v76, v60, v59
	v_fmac_f32_e32 v82, 0x3e9e377a, v62
	v_dual_add_f32 v62, v14, v55 :: v_dual_fmac_f32 v61, 0xbf167918, v77
	v_add_f32_e32 v75, v75, v76
	v_add_f32_e32 v76, v55, v60
	v_sub_f32_e32 v55, v55, v60
	ds_store_2addr_b64 v23, v[91:92], v[67:68] offset0:50 offset1:60
	ds_store_2addr_b64 v23, v[81:82], v[4:5] offset0:70 offset1:80
	v_lshl_add_u32 v4, v44, 3, v16
	v_fmac_f32_e32 v63, 0x3e9e377a, v75
	v_fma_f32 v14, -0.5, v76, v14
	v_dual_add_f32 v76, v15, v53 :: v_dual_fmac_f32 v61, 0x3e9e377a, v75
	v_add_f32_e32 v62, v62, v56
	v_sub_f32_e32 v83, v59, v60
	s_delay_alu instid0(VALU_DEP_3) | instskip(SKIP_1) | instid1(VALU_DEP_4)
	v_dual_fmamk_f32 v75, v77, 0xbf737871, v14 :: v_dual_add_f32 v76, v76, v54
	v_fmac_f32_e32 v14, 0x3f737871, v77
	v_add_f32_e32 v62, v62, v59
	s_delay_alu instid0(VALU_DEP_4) | instskip(NEXT) | instid1(VALU_DEP_4)
	v_add_f32_e32 v83, v78, v83
	v_dual_fmac_f32 v75, 0x3f167918, v64 :: v_dual_add_f32 v76, v76, v57
	s_delay_alu instid0(VALU_DEP_4) | instskip(NEXT) | instid1(VALU_DEP_4)
	v_fmac_f32_e32 v14, 0xbf167918, v64
	v_add_f32_e32 v77, v62, v60
	v_add_f32_e32 v62, v54, v57
	v_sub_f32_e32 v56, v56, v59
	v_add_f32_e32 v78, v76, v58
	v_dual_sub_f32 v76, v58, v57 :: v_dual_fmac_f32 v75, 0x3e9e377a, v83
	s_delay_alu instid0(VALU_DEP_4)
	v_fma_f32 v62, -0.5, v62, v15
	v_dual_fmac_f32 v15, -0.5, v88 :: v_dual_sub_f32 v64, v53, v54
	v_dual_sub_f32 v53, v54, v53 :: v_dual_sub_f32 v54, v57, v58
	v_dual_sub_f32 v57, v47, v48 :: v_dual_add_f32 v88, v0, v50
	ds_store_b64 v23, v[65:66] offset:720
	v_dual_add_f32 v54, v53, v54 :: v_dual_add_f32 v53, v48, v51
	v_dual_add_f32 v59, v64, v76 :: v_dual_fmamk_f32 v64, v55, 0xbf737871, v62
	s_delay_alu instid0(VALU_DEP_2) | instskip(SKIP_4) | instid1(VALU_DEP_4)
	v_fma_f32 v53, -0.5, v53, v12
	v_sub_f32_e32 v58, v52, v51
	v_fmamk_f32 v76, v56, 0x3f737871, v15
	v_fmac_f32_e32 v15, 0xbf737871, v56
	v_fmac_f32_e32 v62, 0x3f737871, v55
	v_dual_fmac_f32 v64, 0xbf167918, v56 :: v_dual_add_f32 v57, v57, v58
	s_delay_alu instid0(VALU_DEP_4) | instskip(NEXT) | instid1(VALU_DEP_3)
	v_fmac_f32_e32 v76, 0xbf167918, v55
	v_dual_fmac_f32 v15, 0x3f167918, v55 :: v_dual_fmac_f32 v62, 0x3f167918, v56
	v_fmac_f32_e32 v14, 0x3e9e377a, v83
	v_sub_f32_e32 v56, v0, v50
	s_delay_alu instid0(VALU_DEP_3)
	v_dual_sub_f32 v60, v48, v47 :: v_dual_fmac_f32 v15, 0x3e9e377a, v54
	v_dual_sub_f32 v83, v51, v52 :: v_dual_fmac_f32 v76, 0x3e9e377a, v54
	v_add_f32_e32 v54, v12, v47
	v_fmac_f32_e32 v64, 0x3e9e377a, v59
	v_dual_fmamk_f32 v55, v56, 0x3f737871, v53 :: v_dual_add_f32 v58, v47, v52
	v_sub_f32_e32 v47, v47, v52
	s_delay_alu instid0(VALU_DEP_4) | instskip(SKIP_1) | instid1(VALU_DEP_4)
	v_add_f32_e32 v54, v54, v48
	v_sub_f32_e32 v48, v48, v51
	v_fma_f32 v12, -0.5, v58, v12
	s_delay_alu instid0(VALU_DEP_3) | instskip(SKIP_1) | instid1(VALU_DEP_1)
	v_add_f32_e32 v54, v54, v51
	v_dual_fmac_f32 v62, 0x3e9e377a, v59 :: v_dual_sub_f32 v59, v46, v49
	v_fmac_f32_e32 v55, 0x3f167918, v59
	s_delay_alu instid0(VALU_DEP_1) | instskip(SKIP_1) | instid1(VALU_DEP_1)
	v_fmac_f32_e32 v55, 0x3e9e377a, v57
	v_fmac_f32_e32 v53, 0xbf737871, v56
	;; [unrolled: 1-line block ×3, first 2 shown]
	s_delay_alu instid0(VALU_DEP_1) | instskip(SKIP_2) | instid1(VALU_DEP_2)
	v_fmac_f32_e32 v53, 0x3e9e377a, v57
	v_fmamk_f32 v57, v59, 0xbf737871, v12
	v_dual_fmac_f32 v12, 0x3f737871, v59 :: v_dual_add_f32 v59, v54, v52
	v_dual_add_f32 v54, v46, v49 :: v_dual_fmac_f32 v57, 0x3f167918, v56
	v_dual_add_f32 v83, v60, v83 :: v_dual_add_f32 v58, v13, v0
	s_delay_alu instid0(VALU_DEP_2)
	v_fma_f32 v54, -0.5, v54, v13
	v_fmac_f32_e32 v13, -0.5, v88
	v_fmac_f32_e32 v12, 0xbf167918, v56
	v_sub_f32_e32 v56, v0, v46
	v_dual_sub_f32 v0, v46, v0 :: v_dual_fmac_f32 v57, 0x3e9e377a, v83
	v_add_f32_e32 v58, v58, v46
	v_sub_f32_e32 v46, v49, v50
	ds_store_2addr_b64 v2, v[77:78], v[63:64] offset0:100 offset1:110
	ds_store_2addr_b64 v2, v[75:76], v[14:15] offset0:120 offset1:130
	ds_store_b64 v2, v[61:62] offset:1120
	v_fmac_f32_e32 v12, 0x3e9e377a, v83
	v_add_f32_e32 v0, v0, v46
	v_add_f32_e32 v58, v58, v49
	s_delay_alu instid0(VALU_DEP_1) | instskip(SKIP_1) | instid1(VALU_DEP_1)
	v_add_f32_e32 v60, v58, v50
	v_sub_f32_e32 v58, v50, v49
	v_add_f32_e32 v51, v56, v58
	v_fmamk_f32 v58, v48, 0x3f737871, v13
	v_dual_fmac_f32 v13, 0xbf737871, v48 :: v_dual_fmamk_f32 v56, v47, 0xbf737871, v54
	v_fmac_f32_e32 v54, 0x3f737871, v47
	s_delay_alu instid0(VALU_DEP_3) | instskip(NEXT) | instid1(VALU_DEP_3)
	v_fmac_f32_e32 v58, 0xbf167918, v47
	v_fmac_f32_e32 v13, 0x3f167918, v47
	s_delay_alu instid0(VALU_DEP_4) | instskip(NEXT) | instid1(VALU_DEP_4)
	v_fmac_f32_e32 v56, 0xbf167918, v48
	v_fmac_f32_e32 v54, 0x3f167918, v48
	s_delay_alu instid0(VALU_DEP_4) | instskip(NEXT) | instid1(VALU_DEP_4)
	v_fmac_f32_e32 v58, 0x3e9e377a, v0
	v_fmac_f32_e32 v13, 0x3e9e377a, v0
	v_lshlrev_b32_e32 v0, 1, v24
	v_fmac_f32_e32 v56, 0x3e9e377a, v51
	v_fmac_f32_e32 v54, 0x3e9e377a, v51
	ds_store_2addr_b64 v4, v[59:60], v[55:56] offset0:100 offset1:110
	ds_store_2addr_b64 v4, v[57:58], v[12:13] offset0:120 offset1:130
	ds_store_b64 v4, v[53:54] offset:1120
	v_lshlrev_b64_e32 v[10:11], 3, v[0:1]
	v_lshlrev_b32_e32 v0, 1, v28
	global_wb scope:SCOPE_SE
	s_wait_dscnt 0x0
	s_barrier_signal -1
	s_barrier_wait -1
	global_inv scope:SCOPE_SE
	v_lshlrev_b64_e32 v[45:46], 3, v[0:1]
	v_lshlrev_b32_e32 v0, 1, v34
	s_delay_alu instid0(VALU_DEP_1) | instskip(SKIP_1) | instid1(VALU_DEP_1)
	v_lshlrev_b64_e32 v[2:3], 3, v[0:1]
	v_lshlrev_b32_e32 v0, 1, v40
	v_lshlrev_b64_e32 v[6:7], 3, v[0:1]
	s_delay_alu instid0(VALU_DEP_3) | instskip(SKIP_1) | instid1(VALU_DEP_4)
	v_add_co_u32 v2, s0, s8, v2
	s_wait_alu 0xf1ff
	v_add_co_ci_u32_e64 v3, s0, s9, v3, s0
	v_lshlrev_b32_e32 v0, 1, v39
	s_delay_alu instid0(VALU_DEP_4)
	v_add_co_u32 v6, s0, s8, v6
	global_load_b128 v[2:5], v[2:3], off offset:320
	s_wait_alu 0xf1ff
	v_add_co_ci_u32_e64 v7, s0, s9, v7, s0
	v_add_co_u32 v10, s0, s8, v10
	s_wait_alu 0xf1ff
	v_add_co_ci_u32_e64 v11, s0, s9, v11, s0
	global_load_b128 v[6:9], v[6:7], off offset:320
	v_add_co_u32 v44, s0, s8, v45
	s_wait_alu 0xf1ff
	v_add_co_ci_u32_e64 v45, s0, s9, v46, s0
	global_load_b128 v[10:13], v[10:11], off offset:320
	v_lshlrev_b64_e32 v[14:15], 3, v[0:1]
	v_lshlrev_b32_e32 v0, 1, v38
	global_load_b128 v[44:47], v[44:45], off offset:320
	v_add_co_u32 v14, s0, s8, v14
	s_wait_alu 0xf1ff
	v_add_co_ci_u32_e64 v15, s0, s9, v15, s0
	v_lshlrev_b64_e32 v[52:53], 3, v[0:1]
	v_lshlrev_b32_e32 v0, 1, v37
	global_load_b128 v[48:51], v[14:15], off offset:320
	v_add_co_u32 v14, s0, s8, v52
	s_wait_alu 0xf1ff
	v_add_co_ci_u32_e64 v15, s0, s9, v53, s0
	v_lshlrev_b64_e32 v[56:57], 3, v[0:1]
	v_lshlrev_b32_e32 v0, 1, v36
	global_load_b128 v[52:55], v[14:15], off offset:320
	v_lshlrev_b64_e32 v[14:15], 3, v[0:1]
	v_lshlrev_b32_e32 v0, 1, v33
	v_add_co_u32 v56, s0, s8, v56
	s_wait_alu 0xf1ff
	v_add_co_ci_u32_e64 v57, s0, s9, v57, s0
	s_delay_alu instid0(VALU_DEP_4)
	v_add_co_u32 v14, s0, s8, v14
	v_lshlrev_b64_e32 v[64:65], 3, v[0:1]
	s_wait_alu 0xf1ff
	v_add_co_ci_u32_e64 v15, s0, s9, v15, s0
	global_load_b128 v[56:59], v[56:57], off offset:320
	v_lshlrev_b32_e32 v0, 1, v32
	global_load_b128 v[60:63], v[14:15], off offset:320
	v_add_co_u32 v14, s0, s8, v64
	s_wait_alu 0xf1ff
	v_add_co_ci_u32_e64 v15, s0, s9, v65, s0
	v_lshlrev_b64_e32 v[68:69], 3, v[0:1]
	global_load_b128 v[64:67], v[14:15], off offset:320
	v_add_co_u32 v14, s0, s8, v68
	s_wait_alu 0xf1ff
	v_add_co_ci_u32_e64 v15, s0, s9, v69, s0
	global_load_b128 v[68:71], v[14:15], off offset:320
	ds_load_2addr_b64 v[72:75], v29 offset0:60 offset1:65
	ds_load_2addr_b64 v[76:79], v29 offset0:110 offset1:115
	;; [unrolled: 1-line block ×3, first 2 shown]
	ds_load_b64 v[14:15], v29 offset:400
	s_wait_loadcnt_dscnt 0x903
	v_mul_f32_e32 v0, v73, v3
	v_mul_f32_e32 v35, v72, v3
	s_wait_dscnt 0x2
	v_mul_f32_e32 v3, v77, v5
	v_mul_f32_e32 v84, v76, v5
	v_fma_f32 v0, v72, v2, -v0
	s_wait_loadcnt 0x8
	v_dual_fmac_f32 v35, v73, v2 :: v_dual_mul_f32 v2, v75, v7
	v_fma_f32 v85, v76, v4, -v3
	v_fmac_f32_e32 v84, v77, v4
	ds_load_2addr_b32 v[76:77], v29 offset0:110 offset1:111
	v_dual_mul_f32 v86, v74, v7 :: v_dual_mul_f32 v7, v79, v9
	v_mul_f32_e32 v87, v78, v9
	v_fma_f32 v88, v74, v6, -v2
	ds_load_2addr_b64 v[2:5], v29 offset0:70 offset1:75
	s_wait_loadcnt_dscnt 0x703
	v_mul_f32_e32 v91, v13, v80
	v_fma_f32 v89, v78, v8, -v7
	s_wait_loadcnt 0x6
	v_dual_fmac_f32 v87, v79, v8 :: v_dual_mul_f32 v92, v82, v47
	ds_load_b64 v[78:79], v17
	v_dual_fmac_f32 v91, v12, v81 :: v_dual_fmac_f32 v86, v75, v6
	ds_load_2addr_b64 v[6:9], v29 offset0:120 offset1:125
	v_fmac_f32_e32 v92, v83, v46
	s_wait_dscnt 0x4
	v_mul_f32_e32 v72, v11, v15
	v_dual_mul_f32 v90, v11, v14 :: v_dual_mul_f32 v11, v13, v81
	s_delay_alu instid0(VALU_DEP_2) | instskip(NEXT) | instid1(VALU_DEP_2)
	v_fma_f32 v14, v10, v14, -v72
	v_fmac_f32_e32 v90, v10, v15
	v_mul_f32_e32 v10, v83, v47
	s_delay_alu instid0(VALU_DEP_4)
	v_fma_f32 v15, v12, v80, -v11
	s_wait_dscnt 0x3
	v_mul_f32_e32 v47, v77, v45
	v_mul_f32_e32 v81, v45, v76
	s_wait_loadcnt_dscnt 0x502
	v_mul_f32_e32 v45, v3, v49
	v_fma_f32 v80, v82, v46, -v10
	ds_load_2addr_b64 v[10:13], v29 offset0:80 offset1:85
	v_dual_mul_f32 v82, v2, v49 :: v_dual_fmac_f32 v81, v77, v44
	v_fma_f32 v77, v2, v48, -v45
	v_fma_f32 v76, v44, v76, -v47
	s_wait_dscnt 0x1
	v_mul_f32_e32 v2, v7, v51
	ds_load_2addr_b64 v[72:75], v29 offset0:130 offset1:135
	s_wait_loadcnt 0x4
	v_dual_fmac_f32 v82, v3, v48 :: v_dual_mul_f32 v3, v5, v53
	v_mul_f32_e32 v93, v4, v53
	v_fma_f32 v94, v6, v50, -v2
	ds_load_2addr_b64 v[44:47], v29 offset0:90 offset1:95
	v_sub_f32_e32 v53, v14, v15
	v_mul_f32_e32 v2, v9, v55
	v_fma_f32 v95, v4, v52, -v3
	v_fmac_f32_e32 v93, v5, v52
	v_mul_f32_e32 v83, v6, v51
	v_mul_f32_e32 v96, v8, v55
	v_fma_f32 v97, v8, v54, -v2
	ds_load_2addr_b64 v[2:5], v29 offset0:140 offset1:145
	s_wait_loadcnt_dscnt 0x303
	v_mul_f32_e32 v6, v11, v57
	s_wait_loadcnt 0x2
	v_mul_f32_e32 v101, v12, v61
	v_fmac_f32_e32 v83, v7, v50
	v_fmac_f32_e32 v96, v9, v54
	v_sub_f32_e32 v52, v90, v91
	v_fma_f32 v100, v10, v56, -v6
	v_mul_f32_e32 v6, v13, v61
	s_wait_dscnt 0x2
	v_mul_f32_e32 v7, v73, v59
	v_fmac_f32_e32 v101, v13, v60
	v_add_f32_e32 v13, v79, v90
	v_mul_f32_e32 v99, v72, v59
	v_fma_f32 v103, v12, v60, -v6
	s_wait_loadcnt_dscnt 0x101
	v_mul_f32_e32 v6, v45, v65
	v_fma_f32 v72, v72, v58, -v7
	v_mul_f32_e32 v7, v75, v63
	v_dual_add_f32 v13, v13, v91 :: v_dual_mul_f32 v98, v10, v57
	s_delay_alu instid0(VALU_DEP_4)
	v_fma_f32 v105, v44, v64, -v6
	s_wait_dscnt 0x0
	v_dual_fmac_f32 v99, v73, v58 :: v_dual_mul_f32 v6, v3, v67
	v_mul_f32_e32 v106, v2, v67
	s_wait_loadcnt 0x0
	v_mul_f32_e32 v109, v4, v71
	v_add_f32_e32 v58, v86, v87
	v_mul_f32_e32 v102, v74, v63
	v_fma_f32 v74, v74, v62, -v7
	v_mul_f32_e32 v7, v47, v69
	v_fma_f32 v108, v2, v66, -v6
	v_sub_f32_e32 v60, v88, v89
	v_fmac_f32_e32 v106, v3, v66
	ds_load_b64 v[2:3], v42
	v_mul_f32_e32 v6, v5, v71
	v_fmac_f32_e32 v98, v11, v56
	v_mul_f32_e32 v104, v44, v65
	v_mul_f32_e32 v107, v46, v69
	v_add_f32_e32 v10, v14, v15
	v_add_f32_e32 v11, v90, v91
	v_fma_f32 v110, v46, v68, -v7
	v_fma_f32 v111, v4, v70, -v6
	v_fmac_f32_e32 v109, v5, v70
	ds_load_b64 v[4:5], v41
	ds_load_b64 v[6:7], v19
	;; [unrolled: 1-line block ×3, first 2 shown]
	v_fmac_f32_e32 v104, v45, v64
	v_dual_fmac_f32 v107, v47, v68 :: v_dual_add_f32 v12, v78, v14
	v_fma_f32 v78, -0.5, v10, v78
	v_fmac_f32_e32 v79, -0.5, v11
	ds_load_b64 v[10:11], v20
	ds_load_b64 v[44:45], v43
	;; [unrolled: 1-line block ×5, first 2 shown]
	v_add_f32_e32 v12, v12, v15
	v_fmamk_f32 v14, v52, 0x3f5db3d7, v78
	v_fmamk_f32 v15, v53, 0xbf5db3d7, v79
	global_wb scope:SCOPE_SE
	s_wait_dscnt 0x0
	s_barrier_signal -1
	s_barrier_wait -1
	global_inv scope:SCOPE_SE
	v_add_f32_e32 v54, v76, v80
	ds_store_2addr_b64 v29, v[12:13], v[14:15] offset1:50
	v_sub_f32_e32 v66, v77, v94
	v_add_f32_e32 v14, v81, v92
	v_sub_f32_e32 v15, v81, v92
	v_dual_add_f32 v55, v8, v76 :: v_dual_add_f32 v56, v9, v81
	v_fma_f32 v8, -0.5, v54, v8
	s_delay_alu instid0(VALU_DEP_4)
	v_dual_fmac_f32 v9, -0.5, v14 :: v_dual_sub_f32 v54, v76, v80
	v_fmac_f32_e32 v79, 0x3f5db3d7, v53
	v_add_f32_e32 v57, v49, v86
	v_add_f32_e32 v53, v5, v35
	v_fmac_f32_e32 v49, -0.5, v58
	v_dual_fmac_f32 v102, v75, v62 :: v_dual_sub_f32 v75, v100, v72
	s_delay_alu instid0(VALU_DEP_4)
	v_dual_add_f32 v57, v57, v87 :: v_dual_fmamk_f32 v14, v15, 0x3f5db3d7, v8
	v_sub_f32_e32 v71, v98, v99
	v_dual_fmac_f32 v8, 0xbf5db3d7, v15 :: v_dual_fmamk_f32 v15, v54, 0xbf5db3d7, v9
	v_add_f32_e32 v13, v56, v92
	v_sub_f32_e32 v56, v35, v84
	v_add_f32_e32 v35, v35, v84
	v_add_f32_e32 v69, v11, v98
	v_fmamk_f32 v59, v60, 0xbf5db3d7, v49
	v_dual_fmac_f32 v49, 0x3f5db3d7, v60 :: v_dual_add_f32 v76, v101, v102
	s_delay_alu instid0(VALU_DEP_4) | instskip(SKIP_4) | instid1(VALU_DEP_4)
	v_fmac_f32_e32 v5, -0.5, v35
	v_add_f32_e32 v63, v82, v83
	v_add_f32_e32 v35, v88, v89
	;; [unrolled: 1-line block ×4, first 2 shown]
	v_dual_add_f32 v68, v100, v72 :: v_dual_fmac_f32 v45, -0.5, v63
	v_add_f32_e32 v63, v3, v93
	v_add_f32_e32 v12, v55, v80
	;; [unrolled: 1-line block ×3, first 2 shown]
	v_fmac_f32_e32 v3, -0.5, v67
	v_add_f32_e32 v53, v53, v84
	v_add_f32_e32 v65, v63, v96
	v_fmac_f32_e32 v78, 0xbf5db3d7, v52
	v_add_f32_e32 v52, v0, v85
	v_dual_sub_f32 v0, v0, v85 :: v_dual_fmamk_f32 v63, v66, 0xbf5db3d7, v45
	v_dual_fmac_f32 v45, 0x3f5db3d7, v66 :: v_dual_sub_f32 v84, v105, v108
	s_delay_alu instid0(VALU_DEP_3)
	v_fma_f32 v4, -0.5, v52, v4
	v_dual_add_f32 v52, v55, v85 :: v_dual_add_f32 v69, v69, v99
	v_add_f32_e32 v55, v48, v88
	v_fma_f32 v48, -0.5, v35, v48
	v_sub_f32_e32 v35, v86, v87
	v_add_f32_e32 v85, v107, v109
	v_sub_f32_e32 v81, v104, v106
	s_delay_alu instid0(VALU_DEP_3) | instskip(SKIP_1) | instid1(VALU_DEP_1)
	v_dual_add_f32 v61, v61, v83 :: v_dual_fmamk_f32 v58, v35, 0x3f5db3d7, v48
	v_dual_fmac_f32 v48, 0xbf5db3d7, v35 :: v_dual_add_f32 v35, v44, v77
	v_dual_add_f32 v60, v35, v94 :: v_dual_add_f32 v35, v2, v95
	s_delay_alu instid0(VALU_DEP_1) | instskip(SKIP_1) | instid1(VALU_DEP_1)
	v_add_f32_e32 v64, v35, v97
	v_sub_f32_e32 v35, v95, v97
	v_fmamk_f32 v67, v35, 0xbf5db3d7, v3
	v_fmac_f32_e32 v3, 0x3f5db3d7, v35
	v_add_f32_e32 v35, v98, v99
	v_dual_fmac_f32 v9, 0x3f5db3d7, v54 :: v_dual_fmamk_f32 v54, v56, 0x3f5db3d7, v4
	v_fmac_f32_e32 v4, 0xbf5db3d7, v56
	v_dual_add_f32 v56, v55, v89 :: v_dual_fmamk_f32 v55, v0, 0xbf5db3d7, v5
	v_fmac_f32_e32 v5, 0x3f5db3d7, v0
	v_dual_fmac_f32 v11, -0.5, v35 :: v_dual_add_f32 v0, v77, v94
	v_add_f32_e32 v77, v51, v104
	v_add_f32_e32 v35, v6, v103
	s_delay_alu instid0(VALU_DEP_3) | instskip(NEXT) | instid1(VALU_DEP_3)
	v_fma_f32 v44, -0.5, v0, v44
	v_dual_sub_f32 v0, v82, v83 :: v_dual_add_f32 v77, v77, v106
	s_delay_alu instid0(VALU_DEP_1) | instskip(SKIP_2) | instid1(VALU_DEP_1)
	v_fmamk_f32 v62, v0, 0x3f5db3d7, v44
	v_fmac_f32_e32 v44, 0xbf5db3d7, v0
	v_add_f32_e32 v0, v95, v97
	v_fma_f32 v2, -0.5, v0, v2
	v_sub_f32_e32 v0, v93, v96
	s_delay_alu instid0(VALU_DEP_1) | instskip(SKIP_3) | instid1(VALU_DEP_2)
	v_fmamk_f32 v66, v0, 0x3f5db3d7, v2
	v_fmac_f32_e32 v2, 0xbf5db3d7, v0
	v_add_f32_e32 v0, v10, v100
	v_fma_f32 v10, -0.5, v68, v10
	v_add_f32_e32 v68, v0, v72
	s_delay_alu instid0(VALU_DEP_2) | instskip(SKIP_3) | instid1(VALU_DEP_3)
	v_fmamk_f32 v70, v71, 0x3f5db3d7, v10
	v_dual_fmac_f32 v10, 0xbf5db3d7, v71 :: v_dual_add_f32 v71, v7, v101
	v_dual_add_f32 v72, v35, v74 :: v_dual_fmac_f32 v7, -0.5, v76
	v_dual_sub_f32 v35, v103, v74 :: v_dual_add_f32 v76, v105, v108
	v_add_f32_e32 v73, v71, v102
	v_fmamk_f32 v71, v75, 0xbf5db3d7, v11
	v_fmac_f32_e32 v11, 0x3f5db3d7, v75
	s_delay_alu instid0(VALU_DEP_4) | instskip(SKIP_2) | instid1(VALU_DEP_1)
	v_fmamk_f32 v75, v35, 0xbf5db3d7, v7
	v_fmac_f32_e32 v7, 0x3f5db3d7, v35
	v_add_f32_e32 v35, v104, v106
	v_fmac_f32_e32 v51, -0.5, v35
	v_add_f32_e32 v35, v46, v110
	s_delay_alu instid0(VALU_DEP_1) | instskip(SKIP_1) | instid1(VALU_DEP_1)
	v_add_f32_e32 v82, v35, v111
	v_dual_sub_f32 v35, v110, v111 :: v_dual_add_f32 v0, v103, v74
	v_fma_f32 v6, -0.5, v0, v6
	v_sub_f32_e32 v0, v101, v102
	s_delay_alu instid0(VALU_DEP_1) | instskip(SKIP_3) | instid1(VALU_DEP_2)
	v_fmamk_f32 v74, v0, 0x3f5db3d7, v6
	v_fmac_f32_e32 v6, 0xbf5db3d7, v0
	v_add_f32_e32 v0, v50, v105
	v_fma_f32 v50, -0.5, v76, v50
	v_add_f32_e32 v76, v0, v108
	v_add_f32_e32 v0, v110, v111
	s_delay_alu instid0(VALU_DEP_3) | instskip(SKIP_2) | instid1(VALU_DEP_4)
	v_fmamk_f32 v80, v81, 0x3f5db3d7, v50
	v_dual_fmac_f32 v50, 0xbf5db3d7, v81 :: v_dual_add_f32 v81, v47, v107
	v_fmac_f32_e32 v47, -0.5, v85
	v_fma_f32 v46, -0.5, v0, v46
	v_sub_f32_e32 v0, v107, v109
	s_delay_alu instid0(VALU_DEP_4) | instskip(SKIP_1) | instid1(VALU_DEP_3)
	v_add_f32_e32 v83, v81, v109
	v_fmamk_f32 v81, v84, 0xbf5db3d7, v51
	v_dual_fmac_f32 v51, 0x3f5db3d7, v84 :: v_dual_fmamk_f32 v84, v0, 0x3f5db3d7, v46
	v_dual_fmac_f32 v46, 0xbf5db3d7, v0 :: v_dual_fmamk_f32 v85, v35, 0xbf5db3d7, v47
	v_fmac_f32_e32 v47, 0x3f5db3d7, v35
	ds_store_b64 v29, v[78:79] offset:800
	ds_store_2addr_b64 v23, v[12:13], v[14:15] offset1:50
	ds_store_b64 v23, v[8:9] offset:800
	ds_store_2addr_b64 v41, v[52:53], v[54:55] offset1:50
	;; [unrolled: 2-line block ×9, first 2 shown]
	ds_store_b64 v21, v[46:47] offset:800
	global_wb scope:SCOPE_SE
	s_wait_dscnt 0x0
	s_barrier_signal -1
	s_barrier_wait -1
	global_inv scope:SCOPE_SE
	ds_load_b64 v[6:7], v17
	v_sub_nc_u32_e32 v0, v16, v25
                                        ; implicit-def: $vgpr5
                                        ; implicit-def: $vgpr8
                                        ; implicit-def: $vgpr2_vgpr3
	v_cmpx_ne_u32_e32 0, v24
	s_wait_alu 0xfffe
	s_xor_b32 s1, exec_lo, s1
	s_cbranch_execz .LBB0_14
; %bb.13:
	ds_load_b64 v[3:4], v0 offset:1200
	s_wait_dscnt 0x0
	v_dual_mov_b32 v25, v1 :: v_dual_add_f32 v8, v4, v7
	s_delay_alu instid0(VALU_DEP_1) | instskip(SKIP_1) | instid1(VALU_DEP_3)
	v_lshlrev_b64_e32 v[1:2], 3, v[24:25]
	v_dual_sub_f32 v5, v6, v3 :: v_dual_sub_f32 v4, v7, v4
	v_dual_add_f32 v3, v3, v6 :: v_dual_mul_f32 v6, 0.5, v8
	s_delay_alu instid0(VALU_DEP_3) | instskip(NEXT) | instid1(VALU_DEP_3)
	v_add_co_u32 v1, s0, s8, v1
	v_mul_f32_e32 v4, 0.5, v4
	s_wait_alu 0xf1ff
	v_add_co_ci_u32_e64 v2, s0, s9, v2, s0
	v_mul_f32_e32 v5, 0.5, v5
	global_load_b64 v[1:2], v[1:2], off offset:1120
	s_wait_loadcnt 0x0
	v_mul_f32_e32 v7, v2, v5
	v_fma_f32 v8, v6, v2, v4
	v_fma_f32 v2, v6, v2, -v4
	s_delay_alu instid0(VALU_DEP_3) | instskip(SKIP_1) | instid1(VALU_DEP_4)
	v_fma_f32 v9, 0.5, v3, v7
	v_fma_f32 v3, v3, 0.5, -v7
	v_fma_f32 v8, -v1, v5, v8
	s_delay_alu instid0(VALU_DEP_4) | instskip(NEXT) | instid1(VALU_DEP_4)
	v_fma_f32 v5, -v1, v5, v2
	v_fmac_f32_e32 v9, v1, v6
	s_delay_alu instid0(VALU_DEP_4)
	v_fma_f32 v4, -v1, v6, v3
	v_dual_mov_b32 v2, v24 :: v_dual_mov_b32 v3, v25
                                        ; implicit-def: $vgpr6_vgpr7
	ds_store_b32 v17, v9
.LBB0_14:
	s_wait_alu 0xfffe
	s_and_not1_saveexec_b32 s0, s1
	s_cbranch_execz .LBB0_16
; %bb.15:
	ds_load_b32 v1, v16 offset:604
	s_wait_dscnt 0x1
	v_dual_mov_b32 v8, 0 :: v_dual_add_f32 v9, v6, v7
	v_mov_b32_e32 v2, 0
	v_dual_sub_f32 v4, v6, v7 :: v_dual_mov_b32 v3, 0
	s_delay_alu instid0(VALU_DEP_3)
	v_mov_b32_e32 v5, v8
	s_wait_dscnt 0x0
	v_xor_b32_e32 v1, 0x80000000, v1
	ds_store_b32 v17, v9
	ds_store_b32 v16, v1 offset:604
.LBB0_16:
	s_wait_alu 0xfffe
	s_or_b32 exec_lo, exec_lo, s0
	v_mov_b32_e32 v29, 0
	s_wait_dscnt 0x0
	s_delay_alu instid0(VALU_DEP_1) | instskip(SKIP_2) | instid1(VALU_DEP_3)
	v_lshlrev_b64_e32 v[6:7], 3, v[28:29]
	v_mov_b32_e32 v35, v29
	v_mov_b32_e32 v41, v29
	v_add_co_u32 v6, s0, s8, v6
	s_wait_alu 0xf1ff
	s_delay_alu instid0(VALU_DEP_4) | instskip(NEXT) | instid1(VALU_DEP_3)
	v_add_co_ci_u32_e64 v7, s0, s9, v7, s0
	v_lshlrev_b64_e32 v[11:12], 3, v[40:41]
	v_mov_b32_e32 v40, v29
	v_lshlrev_b64_e32 v[9:10], 3, v[34:35]
	global_load_b64 v[6:7], v[6:7], off offset:1120
	v_lshl_add_u32 v41, v34, 3, v16
	v_lshlrev_b64_e32 v[13:14], 3, v[39:40]
	v_mov_b32_e32 v39, v29
	v_add_co_u32 v9, s0, s8, v9
	s_wait_alu 0xf1ff
	v_add_co_ci_u32_e64 v10, s0, s9, v10, s0
	v_add_co_u32 v11, s0, s8, v11
	s_wait_alu 0xf1ff
	v_add_co_ci_u32_e64 v12, s0, s9, v12, s0
	global_load_b64 v[9:10], v[9:10], off offset:1120
	v_add_co_u32 v13, s0, s8, v13
	global_load_b64 v[11:12], v[11:12], off offset:1120
	s_wait_alu 0xf1ff
	v_add_co_ci_u32_e64 v14, s0, s9, v14, s0
	v_lshlrev_b64_e32 v[38:39], 3, v[38:39]
	global_load_b64 v[13:14], v[13:14], off offset:1120
	v_add_co_u32 v38, s0, s8, v38
	s_wait_alu 0xf1ff
	v_add_co_ci_u32_e64 v39, s0, s9, v39, s0
	global_load_b64 v[39:40], v[38:39], off offset:1120
	v_mov_b32_e32 v38, v29
	s_delay_alu instid0(VALU_DEP_1) | instskip(NEXT) | instid1(VALU_DEP_1)
	v_lshlrev_b64_e32 v[37:38], 3, v[37:38]
	v_add_co_u32 v37, s0, s8, v37
	s_wait_alu 0xf1ff
	s_delay_alu instid0(VALU_DEP_2)
	v_add_co_ci_u32_e64 v38, s0, s9, v38, s0
	global_load_b64 v[44:45], v[37:38], off offset:1120
	v_mov_b32_e32 v37, v29
	ds_store_b32 v17, v8 offset:4
	ds_store_b64 v0, v[4:5] offset:1200
	v_lshlrev_b64_e32 v[35:36], 3, v[36:37]
	s_delay_alu instid0(VALU_DEP_1) | instskip(SKIP_1) | instid1(VALU_DEP_2)
	v_add_co_u32 v4, s0, s8, v35
	s_wait_alu 0xf1ff
	v_add_co_ci_u32_e64 v5, s0, s9, v36, s0
	ds_load_b64 v[35:36], v23
	ds_load_b64 v[37:38], v0 offset:1160
	global_load_b64 v[4:5], v[4:5], off offset:1120
	s_wait_dscnt 0x0
	v_dual_add_f32 v8, v36, v38 :: v_dual_sub_f32 v1, v35, v37
	v_dual_mov_b32 v34, v29 :: v_dual_sub_f32 v15, v36, v38
	s_delay_alu instid0(VALU_DEP_2) | instskip(NEXT) | instid1(VALU_DEP_3)
	v_mul_f32_e32 v25, 0.5, v8
	v_mul_f32_e32 v1, 0.5, v1
	s_delay_alu instid0(VALU_DEP_3) | instskip(NEXT) | instid1(VALU_DEP_4)
	v_lshlrev_b64_e32 v[33:34], 3, v[33:34]
	v_dual_mul_f32 v8, 0.5, v15 :: v_dual_add_f32 v15, v35, v37
	s_delay_alu instid0(VALU_DEP_2) | instskip(SKIP_1) | instid1(VALU_DEP_3)
	v_add_co_u32 v33, s0, s8, v33
	s_wait_alu 0xf1ff
	v_add_co_ci_u32_e64 v34, s0, s9, v34, s0
	s_wait_loadcnt 0x6
	v_mul_f32_e32 v28, v7, v1
	v_fma_f32 v35, v25, v7, v8
	v_fma_f32 v36, v25, v7, -v8
	s_delay_alu instid0(VALU_DEP_3) | instskip(SKIP_1) | instid1(VALU_DEP_4)
	v_fma_f32 v7, 0.5, v15, v28
	v_fma_f32 v15, v15, 0.5, -v28
	v_fma_f32 v8, -v6, v1, v35
	s_delay_alu instid0(VALU_DEP_4) | instskip(NEXT) | instid1(VALU_DEP_4)
	v_fma_f32 v36, -v6, v1, v36
	v_fmac_f32_e32 v7, v6, v25
	s_delay_alu instid0(VALU_DEP_4)
	v_fma_f32 v35, -v6, v25, v15
	ds_store_b64 v23, v[7:8]
	ds_store_b64 v0, v[35:36] offset:1160
	ds_load_b64 v[6:7], v41
	ds_load_b64 v[35:36], v0 offset:1120
	global_load_b64 v[37:38], v[33:34], off offset:1120
	v_mov_b32_e32 v33, v29
	s_delay_alu instid0(VALU_DEP_1) | instskip(NEXT) | instid1(VALU_DEP_1)
	v_lshlrev_b64_e32 v[32:33], 3, v[32:33]
	v_add_co_u32 v32, s0, s8, v32
	s_wait_alu 0xf1ff
	s_delay_alu instid0(VALU_DEP_2)
	v_add_co_ci_u32_e64 v33, s0, s9, v33, s0
	s_add_nc_u64 s[0:1], s[8:9], 0x460
	s_wait_dscnt 0x0
	v_dual_sub_f32 v1, v6, v35 :: v_dual_add_f32 v8, v7, v36
	v_sub_f32_e32 v7, v7, v36
	v_add_f32_e32 v15, v6, v35
	s_delay_alu instid0(VALU_DEP_3) | instskip(NEXT) | instid1(VALU_DEP_3)
	v_dual_mul_f32 v1, 0.5, v1 :: v_dual_mul_f32 v8, 0.5, v8
	v_mul_f32_e32 v7, 0.5, v7
	s_wait_loadcnt 0x6
	s_delay_alu instid0(VALU_DEP_2) | instskip(NEXT) | instid1(VALU_DEP_2)
	v_mul_f32_e32 v23, v10, v1
	v_fma_f32 v25, v8, v10, v7
	v_fma_f32 v10, v8, v10, -v7
	s_delay_alu instid0(VALU_DEP_3) | instskip(SKIP_1) | instid1(VALU_DEP_4)
	v_fma_f32 v6, 0.5, v15, v23
	v_fma_f32 v15, v15, 0.5, -v23
	v_fma_f32 v7, -v9, v1, v25
	s_delay_alu instid0(VALU_DEP_4) | instskip(NEXT) | instid1(VALU_DEP_4)
	v_fma_f32 v10, -v9, v1, v10
	v_fmac_f32_e32 v6, v9, v8
	s_delay_alu instid0(VALU_DEP_4)
	v_fma_f32 v9, -v9, v8, v15
	ds_store_b64 v41, v[6:7]
	ds_store_b64 v0, v[9:10] offset:1120
	ds_load_b64 v[6:7], v22
	ds_load_b64 v[8:9], v0 offset:1080
	global_load_b64 v[32:33], v[32:33], off offset:1120
	s_wait_dscnt 0x0
	v_dual_sub_f32 v1, v6, v8 :: v_dual_add_f32 v10, v7, v9
	v_dual_sub_f32 v7, v7, v9 :: v_dual_add_f32 v8, v6, v8
	s_delay_alu instid0(VALU_DEP_2) | instskip(SKIP_1) | instid1(VALU_DEP_3)
	v_mul_f32_e32 v9, 0.5, v1
	v_lshlrev_b64_e32 v[1:2], 3, v[2:3]
	v_dual_mul_f32 v10, 0.5, v10 :: v_dual_mul_f32 v7, 0.5, v7
	s_wait_loadcnt 0x6
	s_delay_alu instid0(VALU_DEP_3) | instskip(SKIP_1) | instid1(VALU_DEP_3)
	v_mul_f32_e32 v15, v12, v9
	s_wait_alu 0xfffe
	v_add_co_u32 v1, s0, s0, v1
	v_fma_f32 v3, v10, v12, v7
	v_fma_f32 v12, v10, v12, -v7
	v_fma_f32 v6, 0.5, v8, v15
	v_fma_f32 v8, v8, 0.5, -v15
	s_wait_alu 0xf1ff
	v_add_co_ci_u32_e64 v2, s0, s1, v2, s0
	v_fma_f32 v7, -v11, v9, v3
	v_fma_f32 v9, -v11, v9, v12
	v_fmac_f32_e32 v6, v11, v10
	v_fma_f32 v8, -v11, v10, v8
	global_load_b64 v[10:11], v[1:2], off offset:400
	ds_store_b64 v22, v[6:7]
	ds_store_b64 v0, v[8:9] offset:1080
	ds_load_b64 v[6:7], v43
	ds_load_b64 v[8:9], v0 offset:1040
	s_wait_dscnt 0x0
	v_dual_sub_f32 v3, v6, v8 :: v_dual_add_f32 v12, v7, v9
	v_dual_sub_f32 v7, v7, v9 :: v_dual_add_f32 v8, v6, v8
	s_delay_alu instid0(VALU_DEP_2) | instskip(NEXT) | instid1(VALU_DEP_2)
	v_dual_mul_f32 v3, 0.5, v3 :: v_dual_mul_f32 v12, 0.5, v12
	v_mul_f32_e32 v7, 0.5, v7
	s_wait_loadcnt 0x6
	s_delay_alu instid0(VALU_DEP_2) | instskip(NEXT) | instid1(VALU_DEP_2)
	v_mul_f32_e32 v9, v14, v3
	v_fma_f32 v15, v12, v14, v7
	v_fma_f32 v14, v12, v14, -v7
	s_delay_alu instid0(VALU_DEP_3) | instskip(SKIP_1) | instid1(VALU_DEP_4)
	v_fma_f32 v6, 0.5, v8, v9
	v_fma_f32 v8, v8, 0.5, -v9
	v_fma_f32 v7, -v13, v3, v15
	s_delay_alu instid0(VALU_DEP_4) | instskip(NEXT) | instid1(VALU_DEP_4)
	v_fma_f32 v9, -v13, v3, v14
	v_fmac_f32_e32 v6, v13, v12
	s_delay_alu instid0(VALU_DEP_4)
	v_fma_f32 v8, -v13, v12, v8
	global_load_b64 v[12:13], v[1:2], off offset:440
	ds_store_b64 v43, v[6:7]
	ds_store_b64 v0, v[8:9] offset:1040
	ds_load_b64 v[6:7], v42
	ds_load_b64 v[8:9], v0 offset:1000
	s_wait_dscnt 0x0
	v_dual_sub_f32 v3, v6, v8 :: v_dual_add_f32 v14, v7, v9
	v_dual_sub_f32 v7, v7, v9 :: v_dual_add_f32 v8, v6, v8
	s_delay_alu instid0(VALU_DEP_2) | instskip(NEXT) | instid1(VALU_DEP_2)
	v_dual_mul_f32 v3, 0.5, v3 :: v_dual_mul_f32 v14, 0.5, v14
	v_mul_f32_e32 v7, 0.5, v7
	s_wait_loadcnt 0x6
	s_delay_alu instid0(VALU_DEP_2) | instskip(NEXT) | instid1(VALU_DEP_2)
	v_mul_f32_e32 v9, v40, v3
	v_fma_f32 v15, v14, v40, v7
	v_fma_f32 v22, v14, v40, -v7
	s_delay_alu instid0(VALU_DEP_3) | instskip(SKIP_1) | instid1(VALU_DEP_4)
	v_fma_f32 v6, 0.5, v8, v9
	v_fma_f32 v8, v8, 0.5, -v9
	v_fma_f32 v7, -v39, v3, v15
	s_delay_alu instid0(VALU_DEP_4) | instskip(NEXT) | instid1(VALU_DEP_4)
	v_fma_f32 v9, -v39, v3, v22
	v_fmac_f32_e32 v6, v39, v14
	s_delay_alu instid0(VALU_DEP_4)
	;; [unrolled: 25-line block ×3, first 2 shown]
	v_fma_f32 v8, -v44, v22, v8
	global_load_b64 v[22:23], v[1:2], off offset:520
	ds_store_b64 v20, v[6:7]
	ds_store_b64 v0, v[8:9] offset:960
	ds_load_b64 v[6:7], v19
	ds_load_b64 v[8:9], v0 offset:920
	global_load_b64 v[1:2], v[1:2], off offset:560
	s_wait_dscnt 0x0
	v_dual_sub_f32 v3, v6, v8 :: v_dual_add_f32 v20, v7, v9
	v_dual_sub_f32 v7, v7, v9 :: v_dual_add_f32 v6, v6, v8
	s_delay_alu instid0(VALU_DEP_2) | instskip(NEXT) | instid1(VALU_DEP_3)
	v_mul_f32_e32 v3, 0.5, v3
	v_mul_f32_e32 v9, 0.5, v20
	s_delay_alu instid0(VALU_DEP_3) | instskip(SKIP_1) | instid1(VALU_DEP_3)
	v_mul_f32_e32 v7, 0.5, v7
	s_wait_loadcnt 0x7
	v_mul_f32_e32 v8, v5, v3
	s_delay_alu instid0(VALU_DEP_2) | instskip(SKIP_1) | instid1(VALU_DEP_3)
	v_fma_f32 v20, v9, v5, v7
	v_fma_f32 v7, v9, v5, -v7
	v_fma_f32 v5, 0.5, v6, v8
	v_fma_f32 v25, v6, 0.5, -v8
	s_delay_alu instid0(VALU_DEP_4) | instskip(NEXT) | instid1(VALU_DEP_4)
	v_fma_f32 v6, -v4, v3, v20
	v_fma_f32 v8, -v4, v3, v7
	s_delay_alu instid0(VALU_DEP_4) | instskip(NEXT) | instid1(VALU_DEP_4)
	v_fmac_f32_e32 v5, v4, v9
	v_fma_f32 v7, -v4, v9, v25
	ds_store_b64 v19, v[5:6]
	ds_store_b64 v0, v[7:8] offset:920
	ds_load_b64 v[3:4], v18
	ds_load_b64 v[5:6], v0 offset:880
	s_wait_dscnt 0x0
	v_dual_sub_f32 v7, v3, v5 :: v_dual_add_f32 v8, v4, v6
	v_dual_sub_f32 v4, v4, v6 :: v_dual_add_f32 v5, v3, v5
	s_delay_alu instid0(VALU_DEP_2) | instskip(NEXT) | instid1(VALU_DEP_2)
	v_dual_mul_f32 v6, 0.5, v7 :: v_dual_mul_f32 v7, 0.5, v8
	v_mul_f32_e32 v4, 0.5, v4
	s_wait_loadcnt 0x6
	s_delay_alu instid0(VALU_DEP_2) | instskip(NEXT) | instid1(VALU_DEP_2)
	v_mul_f32_e32 v8, v38, v6
	v_fma_f32 v9, v7, v38, v4
	v_fma_f32 v19, v7, v38, -v4
	s_delay_alu instid0(VALU_DEP_3) | instskip(SKIP_1) | instid1(VALU_DEP_4)
	v_fma_f32 v3, 0.5, v5, v8
	v_fma_f32 v5, v5, 0.5, -v8
	v_fma_f32 v4, -v37, v6, v9
	s_delay_alu instid0(VALU_DEP_4) | instskip(NEXT) | instid1(VALU_DEP_4)
	v_fma_f32 v6, -v37, v6, v19
	v_fmac_f32_e32 v3, v37, v7
	s_delay_alu instid0(VALU_DEP_4)
	v_fma_f32 v5, -v37, v7, v5
	ds_store_b64 v18, v[3:4]
	ds_store_b64 v0, v[5:6] offset:880
	ds_load_b64 v[3:4], v21
	ds_load_b64 v[5:6], v0 offset:840
	s_wait_dscnt 0x0
	v_dual_sub_f32 v7, v3, v5 :: v_dual_add_f32 v8, v4, v6
	v_dual_sub_f32 v4, v4, v6 :: v_dual_add_f32 v5, v3, v5
	s_delay_alu instid0(VALU_DEP_2) | instskip(NEXT) | instid1(VALU_DEP_2)
	v_dual_mul_f32 v6, 0.5, v7 :: v_dual_mul_f32 v7, 0.5, v8
	v_mul_f32_e32 v4, 0.5, v4
	s_wait_loadcnt 0x5
	s_delay_alu instid0(VALU_DEP_2) | instskip(NEXT) | instid1(VALU_DEP_2)
	v_mul_f32_e32 v8, v33, v6
	v_fma_f32 v9, v7, v33, v4
	v_fma_f32 v18, v7, v33, -v4
	s_delay_alu instid0(VALU_DEP_3) | instskip(SKIP_1) | instid1(VALU_DEP_4)
	v_fma_f32 v3, 0.5, v5, v8
	v_fma_f32 v5, v5, 0.5, -v8
	v_fma_f32 v4, -v32, v6, v9
	s_delay_alu instid0(VALU_DEP_4) | instskip(NEXT) | instid1(VALU_DEP_4)
	v_fma_f32 v6, -v32, v6, v18
	v_fmac_f32_e32 v3, v32, v7
	s_delay_alu instid0(VALU_DEP_4)
	v_fma_f32 v5, -v32, v7, v5
	ds_store_b64 v21, v[3:4]
	ds_store_b64 v0, v[5:6] offset:840
	ds_load_b64 v[3:4], v17 offset:400
	ds_load_b64 v[5:6], v0 offset:800
	s_wait_dscnt 0x0
	v_dual_sub_f32 v7, v3, v5 :: v_dual_add_f32 v8, v4, v6
	v_dual_sub_f32 v4, v4, v6 :: v_dual_add_f32 v5, v3, v5
	s_delay_alu instid0(VALU_DEP_2) | instskip(NEXT) | instid1(VALU_DEP_2)
	v_dual_mul_f32 v6, 0.5, v7 :: v_dual_mul_f32 v7, 0.5, v8
	v_mul_f32_e32 v4, 0.5, v4
	s_wait_loadcnt 0x4
	s_delay_alu instid0(VALU_DEP_2) | instskip(NEXT) | instid1(VALU_DEP_2)
	v_mul_f32_e32 v8, v11, v6
	v_fma_f32 v9, v7, v11, v4
	v_fma_f32 v11, v7, v11, -v4
	s_delay_alu instid0(VALU_DEP_3) | instskip(SKIP_1) | instid1(VALU_DEP_4)
	v_fma_f32 v3, 0.5, v5, v8
	v_fma_f32 v5, v5, 0.5, -v8
	v_fma_f32 v4, -v10, v6, v9
	s_delay_alu instid0(VALU_DEP_4) | instskip(NEXT) | instid1(VALU_DEP_4)
	v_fma_f32 v6, -v10, v6, v11
	v_fmac_f32_e32 v3, v10, v7
	s_delay_alu instid0(VALU_DEP_4)
	v_fma_f32 v5, -v10, v7, v5
	ds_store_b64 v17, v[3:4] offset:400
	ds_store_b64 v0, v[5:6] offset:800
	ds_load_b64 v[3:4], v17 offset:440
	ds_load_b64 v[5:6], v0 offset:760
	s_wait_dscnt 0x0
	v_dual_sub_f32 v7, v3, v5 :: v_dual_add_f32 v8, v4, v6
	v_dual_sub_f32 v4, v4, v6 :: v_dual_add_f32 v5, v3, v5
	s_delay_alu instid0(VALU_DEP_2) | instskip(NEXT) | instid1(VALU_DEP_2)
	v_dual_mul_f32 v6, 0.5, v7 :: v_dual_mul_f32 v7, 0.5, v8
	v_mul_f32_e32 v4, 0.5, v4
	s_wait_loadcnt 0x3
	s_delay_alu instid0(VALU_DEP_2) | instskip(NEXT) | instid1(VALU_DEP_2)
	v_mul_f32_e32 v8, v13, v6
	v_fma_f32 v9, v7, v13, v4
	v_fma_f32 v10, v7, v13, -v4
	s_delay_alu instid0(VALU_DEP_3) | instskip(SKIP_1) | instid1(VALU_DEP_4)
	v_fma_f32 v3, 0.5, v5, v8
	v_fma_f32 v5, v5, 0.5, -v8
	v_fma_f32 v4, -v12, v6, v9
	s_delay_alu instid0(VALU_DEP_4) | instskip(NEXT) | instid1(VALU_DEP_4)
	v_fma_f32 v6, -v12, v6, v10
	v_fmac_f32_e32 v3, v12, v7
	s_delay_alu instid0(VALU_DEP_4)
	v_fma_f32 v5, -v12, v7, v5
	ds_store_b64 v17, v[3:4] offset:440
	;; [unrolled: 24-line block ×4, first 2 shown]
	ds_store_b64 v0, v[5:6] offset:680
	ds_load_b64 v[3:4], v17 offset:560
	ds_load_b64 v[5:6], v0 offset:640
	s_wait_dscnt 0x0
	v_dual_sub_f32 v7, v3, v5 :: v_dual_add_f32 v8, v4, v6
	v_dual_sub_f32 v4, v4, v6 :: v_dual_add_f32 v3, v3, v5
	s_delay_alu instid0(VALU_DEP_2) | instskip(SKIP_1) | instid1(VALU_DEP_1)
	v_dual_mul_f32 v6, 0.5, v7 :: v_dual_mul_f32 v7, 0.5, v8
	s_wait_loadcnt 0x0
	v_dual_mul_f32 v4, 0.5, v4 :: v_dual_mul_f32 v5, v2, v6
	s_delay_alu instid0(VALU_DEP_1) | instskip(SKIP_1) | instid1(VALU_DEP_3)
	v_fma_f32 v8, v7, v2, v4
	v_fma_f32 v4, v7, v2, -v4
	v_fma_f32 v2, 0.5, v3, v5
	v_fma_f32 v9, v3, 0.5, -v5
	s_delay_alu instid0(VALU_DEP_4) | instskip(NEXT) | instid1(VALU_DEP_4)
	v_fma_f32 v3, -v1, v6, v8
	v_fma_f32 v5, -v1, v6, v4
	s_delay_alu instid0(VALU_DEP_4) | instskip(NEXT) | instid1(VALU_DEP_4)
	v_fmac_f32_e32 v2, v1, v7
	v_fma_f32 v4, -v1, v7, v9
	ds_store_b64 v17, v[2:3] offset:560
	ds_store_b64 v0, v[4:5] offset:640
	global_wb scope:SCOPE_SE
	s_wait_dscnt 0x0
	s_barrier_signal -1
	s_barrier_wait -1
	global_inv scope:SCOPE_SE
	s_and_saveexec_b32 s0, vcc_lo
	s_cbranch_execz .LBB0_19
; %bb.17:
	v_mul_lo_u32 v2, s3, v30
	v_mul_lo_u32 v3, s2, v31
	v_mad_co_u64_u32 v[0:1], null, s2, v30, 0
	v_dual_mov_b32 v25, v29 :: v_dual_add_nc_u32 v28, 5, v24
	v_lshlrev_b64_e32 v[11:12], 3, v[26:27]
	s_delay_alu instid0(VALU_DEP_2) | instskip(NEXT) | instid1(VALU_DEP_4)
	v_lshlrev_b64_e32 v[13:14], 3, v[24:25]
	v_add3_u32 v1, v1, v3, v2
	v_lshl_add_u32 v2, v24, 3, v16
	v_lshlrev_b64_e32 v[15:16], 3, v[28:29]
	v_add_nc_u32_e32 v28, 10, v24
	s_delay_alu instid0(VALU_DEP_4)
	v_lshlrev_b64_e32 v[0:1], 3, v[0:1]
	ds_load_2addr_b64 v[3:6], v2 offset1:5
	ds_load_2addr_b64 v[7:10], v2 offset0:10 offset1:15
	v_lshlrev_b64_e32 v[17:18], 3, v[28:29]
	v_add_nc_u32_e32 v28, 15, v24
	v_add_co_u32 v0, vcc_lo, s6, v0
	s_wait_alu 0xfffd
	v_add_co_ci_u32_e32 v1, vcc_lo, s7, v1, vcc_lo
	s_delay_alu instid0(VALU_DEP_2) | instskip(SKIP_1) | instid1(VALU_DEP_2)
	v_add_co_u32 v0, vcc_lo, v0, v11
	s_wait_alu 0xfffd
	v_add_co_ci_u32_e32 v1, vcc_lo, v1, v12, vcc_lo
	s_delay_alu instid0(VALU_DEP_2) | instskip(SKIP_1) | instid1(VALU_DEP_2)
	v_add_co_u32 v11, vcc_lo, v0, v13
	s_wait_alu 0xfffd
	v_add_co_ci_u32_e32 v12, vcc_lo, v1, v14, vcc_lo
	v_add_co_u32 v13, vcc_lo, v0, v15
	s_wait_alu 0xfffd
	v_add_co_ci_u32_e32 v14, vcc_lo, v1, v16, vcc_lo
	v_lshlrev_b64_e32 v[15:16], 3, v[28:29]
	v_add_nc_u32_e32 v28, 20, v24
	v_add_co_u32 v17, vcc_lo, v0, v17
	s_wait_alu 0xfffd
	v_add_co_ci_u32_e32 v18, vcc_lo, v1, v18, vcc_lo
	s_delay_alu instid0(VALU_DEP_4)
	v_add_co_u32 v15, vcc_lo, v0, v15
	v_lshlrev_b64_e32 v[19:20], 3, v[28:29]
	v_add_nc_u32_e32 v28, 25, v24
	s_wait_alu 0xfffd
	v_add_co_ci_u32_e32 v16, vcc_lo, v1, v16, vcc_lo
	s_wait_dscnt 0x1
	s_clause 0x1
	global_store_b64 v[11:12], v[3:4], off
	global_store_b64 v[13:14], v[5:6], off
	s_wait_dscnt 0x0
	s_clause 0x1
	global_store_b64 v[17:18], v[7:8], off
	global_store_b64 v[15:16], v[9:10], off
	ds_load_2addr_b64 v[3:6], v2 offset0:20 offset1:25
	v_lshlrev_b64_e32 v[11:12], 3, v[28:29]
	v_add_nc_u32_e32 v28, 30, v24
	ds_load_2addr_b64 v[7:10], v2 offset0:30 offset1:35
	v_add_co_u32 v13, vcc_lo, v0, v19
	s_wait_alu 0xfffd
	v_add_co_ci_u32_e32 v14, vcc_lo, v1, v20, vcc_lo
	v_lshlrev_b64_e32 v[15:16], 3, v[28:29]
	v_add_nc_u32_e32 v28, 35, v24
	v_add_co_u32 v11, vcc_lo, v0, v11
	s_wait_alu 0xfffd
	v_add_co_ci_u32_e32 v12, vcc_lo, v1, v12, vcc_lo
	s_delay_alu instid0(VALU_DEP_3) | instskip(SKIP_4) | instid1(VALU_DEP_4)
	v_lshlrev_b64_e32 v[17:18], 3, v[28:29]
	v_add_nc_u32_e32 v28, 40, v24
	v_add_co_u32 v15, vcc_lo, v0, v15
	s_wait_alu 0xfffd
	v_add_co_ci_u32_e32 v16, vcc_lo, v1, v16, vcc_lo
	v_add_co_u32 v17, vcc_lo, v0, v17
	v_lshlrev_b64_e32 v[19:20], 3, v[28:29]
	v_add_nc_u32_e32 v28, 45, v24
	s_wait_alu 0xfffd
	v_add_co_ci_u32_e32 v18, vcc_lo, v1, v18, vcc_lo
	s_wait_dscnt 0x1
	s_clause 0x1
	global_store_b64 v[13:14], v[3:4], off
	global_store_b64 v[11:12], v[5:6], off
	s_wait_dscnt 0x0
	s_clause 0x1
	global_store_b64 v[15:16], v[7:8], off
	global_store_b64 v[17:18], v[9:10], off
	ds_load_2addr_b64 v[3:6], v2 offset0:40 offset1:45
	v_lshlrev_b64_e32 v[11:12], 3, v[28:29]
	v_add_nc_u32_e32 v28, 50, v24
	ds_load_2addr_b64 v[7:10], v2 offset0:50 offset1:55
	v_add_co_u32 v13, vcc_lo, v0, v19
	s_wait_alu 0xfffd
	v_add_co_ci_u32_e32 v14, vcc_lo, v1, v20, vcc_lo
	v_lshlrev_b64_e32 v[15:16], 3, v[28:29]
	v_add_nc_u32_e32 v28, 55, v24
	v_add_co_u32 v11, vcc_lo, v0, v11
	s_wait_alu 0xfffd
	v_add_co_ci_u32_e32 v12, vcc_lo, v1, v12, vcc_lo
	s_delay_alu instid0(VALU_DEP_3) | instskip(SKIP_4) | instid1(VALU_DEP_4)
	v_lshlrev_b64_e32 v[17:18], 3, v[28:29]
	v_add_nc_u32_e32 v28, 60, v24
	v_add_co_u32 v15, vcc_lo, v0, v15
	s_wait_alu 0xfffd
	v_add_co_ci_u32_e32 v16, vcc_lo, v1, v16, vcc_lo
	;; [unrolled: 31-line block ×4, first 2 shown]
	v_add_co_u32 v17, vcc_lo, v0, v17
	v_lshlrev_b64_e32 v[19:20], 3, v[28:29]
	v_add_nc_u32_e32 v28, 0x69, v24
	s_wait_alu 0xfffd
	v_add_co_ci_u32_e32 v18, vcc_lo, v1, v18, vcc_lo
	s_wait_dscnt 0x1
	s_clause 0x1
	global_store_b64 v[13:14], v[3:4], off
	global_store_b64 v[11:12], v[5:6], off
	s_wait_dscnt 0x0
	s_clause 0x1
	global_store_b64 v[15:16], v[7:8], off
	global_store_b64 v[17:18], v[9:10], off
	ds_load_2addr_b64 v[3:6], v2 offset0:100 offset1:105
	v_lshlrev_b64_e32 v[11:12], 3, v[28:29]
	v_add_nc_u32_e32 v28, 0x6e, v24
	ds_load_2addr_b64 v[7:10], v2 offset0:110 offset1:115
	v_add_co_u32 v13, vcc_lo, v0, v19
	s_wait_alu 0xfffd
	v_add_co_ci_u32_e32 v14, vcc_lo, v1, v20, vcc_lo
	v_lshlrev_b64_e32 v[15:16], 3, v[28:29]
	v_add_nc_u32_e32 v28, 0x73, v24
	v_add_co_u32 v11, vcc_lo, v0, v11
	s_wait_alu 0xfffd
	v_add_co_ci_u32_e32 v12, vcc_lo, v1, v12, vcc_lo
	s_delay_alu instid0(VALU_DEP_3) | instskip(SKIP_4) | instid1(VALU_DEP_3)
	v_lshlrev_b64_e32 v[17:18], 3, v[28:29]
	v_add_nc_u32_e32 v28, 0x78, v24
	v_add_co_u32 v15, vcc_lo, v0, v15
	s_wait_alu 0xfffd
	v_add_co_ci_u32_e32 v16, vcc_lo, v1, v16, vcc_lo
	v_lshlrev_b64_e32 v[19:20], 3, v[28:29]
	v_add_nc_u32_e32 v28, 0x7d, v24
	v_add_co_u32 v17, vcc_lo, v0, v17
	s_wait_alu 0xfffd
	v_add_co_ci_u32_e32 v18, vcc_lo, v1, v18, vcc_lo
	s_wait_dscnt 0x1
	s_clause 0x1
	global_store_b64 v[13:14], v[3:4], off
	global_store_b64 v[11:12], v[5:6], off
	s_wait_dscnt 0x0
	s_clause 0x1
	global_store_b64 v[15:16], v[7:8], off
	global_store_b64 v[17:18], v[9:10], off
	v_lshlrev_b64_e32 v[7:8], 3, v[28:29]
	v_add_nc_u32_e32 v28, 0x82, v24
	v_add_co_u32 v15, vcc_lo, v0, v19
	s_wait_alu 0xfffd
	v_add_co_ci_u32_e32 v16, vcc_lo, v1, v20, vcc_lo
	s_delay_alu instid0(VALU_DEP_3)
	v_lshlrev_b64_e32 v[11:12], 3, v[28:29]
	v_add_nc_u32_e32 v28, 0x87, v24
	v_add_co_u32 v17, vcc_lo, v0, v7
	ds_load_2addr_b64 v[3:6], v2 offset0:120 offset1:125
	s_wait_alu 0xfffd
	v_add_co_ci_u32_e32 v18, vcc_lo, v1, v8, vcc_lo
	v_lshlrev_b64_e32 v[19:20], 3, v[28:29]
	v_add_nc_u32_e32 v28, 0x8c, v24
	ds_load_2addr_b64 v[7:10], v2 offset0:130 offset1:135
	v_add_co_u32 v21, vcc_lo, v0, v11
	s_wait_alu 0xfffd
	v_add_co_ci_u32_e32 v22, vcc_lo, v1, v12, vcc_lo
	v_lshlrev_b64_e32 v[25:26], 3, v[28:29]
	v_add_nc_u32_e32 v28, 0x91, v24
	ds_load_2addr_b64 v[11:14], v2 offset0:140 offset1:145
	v_add_co_u32 v19, vcc_lo, v0, v19
	s_wait_alu 0xfffd
	v_add_co_ci_u32_e32 v20, vcc_lo, v1, v20, vcc_lo
	v_lshlrev_b64_e32 v[27:28], 3, v[28:29]
	v_add_co_u32 v25, vcc_lo, v0, v25
	s_wait_alu 0xfffd
	v_add_co_ci_u32_e32 v26, vcc_lo, v1, v26, vcc_lo
	s_delay_alu instid0(VALU_DEP_3)
	v_add_co_u32 v27, vcc_lo, v0, v27
	s_wait_alu 0xfffd
	v_add_co_ci_u32_e32 v28, vcc_lo, v1, v28, vcc_lo
	v_cmp_eq_u32_e32 vcc_lo, 4, v24
	s_wait_dscnt 0x2
	s_clause 0x1
	global_store_b64 v[15:16], v[3:4], off
	global_store_b64 v[17:18], v[5:6], off
	s_wait_dscnt 0x1
	s_clause 0x1
	global_store_b64 v[21:22], v[7:8], off
	global_store_b64 v[19:20], v[9:10], off
	;; [unrolled: 4-line block ×3, first 2 shown]
	s_and_b32 exec_lo, exec_lo, vcc_lo
	s_cbranch_execz .LBB0_19
; %bb.18:
	ds_load_b64 v[2:3], v2 offset:1168
	s_wait_dscnt 0x0
	global_store_b64 v[0:1], v[2:3], off offset:1200
.LBB0_19:
	s_nop 0
	s_sendmsg sendmsg(MSG_DEALLOC_VGPRS)
	s_endpgm
	.section	.rodata,"a",@progbits
	.p2align	6, 0x0
	.amdhsa_kernel fft_rtc_fwd_len150_factors_10_5_3_wgs_60_tpt_5_halfLds_sp_op_CI_CI_unitstride_sbrr_R2C_dirReg
		.amdhsa_group_segment_fixed_size 0
		.amdhsa_private_segment_fixed_size 0
		.amdhsa_kernarg_size 104
		.amdhsa_user_sgpr_count 2
		.amdhsa_user_sgpr_dispatch_ptr 0
		.amdhsa_user_sgpr_queue_ptr 0
		.amdhsa_user_sgpr_kernarg_segment_ptr 1
		.amdhsa_user_sgpr_dispatch_id 0
		.amdhsa_user_sgpr_private_segment_size 0
		.amdhsa_wavefront_size32 1
		.amdhsa_uses_dynamic_stack 0
		.amdhsa_enable_private_segment 0
		.amdhsa_system_sgpr_workgroup_id_x 1
		.amdhsa_system_sgpr_workgroup_id_y 0
		.amdhsa_system_sgpr_workgroup_id_z 0
		.amdhsa_system_sgpr_workgroup_info 0
		.amdhsa_system_vgpr_workitem_id 0
		.amdhsa_next_free_vgpr 144
		.amdhsa_next_free_sgpr 39
		.amdhsa_reserve_vcc 1
		.amdhsa_float_round_mode_32 0
		.amdhsa_float_round_mode_16_64 0
		.amdhsa_float_denorm_mode_32 3
		.amdhsa_float_denorm_mode_16_64 3
		.amdhsa_fp16_overflow 0
		.amdhsa_workgroup_processor_mode 1
		.amdhsa_memory_ordered 1
		.amdhsa_forward_progress 0
		.amdhsa_round_robin_scheduling 0
		.amdhsa_exception_fp_ieee_invalid_op 0
		.amdhsa_exception_fp_denorm_src 0
		.amdhsa_exception_fp_ieee_div_zero 0
		.amdhsa_exception_fp_ieee_overflow 0
		.amdhsa_exception_fp_ieee_underflow 0
		.amdhsa_exception_fp_ieee_inexact 0
		.amdhsa_exception_int_div_zero 0
	.end_amdhsa_kernel
	.text
.Lfunc_end0:
	.size	fft_rtc_fwd_len150_factors_10_5_3_wgs_60_tpt_5_halfLds_sp_op_CI_CI_unitstride_sbrr_R2C_dirReg, .Lfunc_end0-fft_rtc_fwd_len150_factors_10_5_3_wgs_60_tpt_5_halfLds_sp_op_CI_CI_unitstride_sbrr_R2C_dirReg
                                        ; -- End function
	.section	.AMDGPU.csdata,"",@progbits
; Kernel info:
; codeLenInByte = 15536
; NumSgprs: 41
; NumVgprs: 144
; ScratchSize: 0
; MemoryBound: 0
; FloatMode: 240
; IeeeMode: 1
; LDSByteSize: 0 bytes/workgroup (compile time only)
; SGPRBlocks: 5
; VGPRBlocks: 17
; NumSGPRsForWavesPerEU: 41
; NumVGPRsForWavesPerEU: 144
; Occupancy: 10
; WaveLimiterHint : 1
; COMPUTE_PGM_RSRC2:SCRATCH_EN: 0
; COMPUTE_PGM_RSRC2:USER_SGPR: 2
; COMPUTE_PGM_RSRC2:TRAP_HANDLER: 0
; COMPUTE_PGM_RSRC2:TGID_X_EN: 1
; COMPUTE_PGM_RSRC2:TGID_Y_EN: 0
; COMPUTE_PGM_RSRC2:TGID_Z_EN: 0
; COMPUTE_PGM_RSRC2:TIDIG_COMP_CNT: 0
	.text
	.p2alignl 7, 3214868480
	.fill 96, 4, 3214868480
	.type	__hip_cuid_4bf21ff496a08bf9,@object ; @__hip_cuid_4bf21ff496a08bf9
	.section	.bss,"aw",@nobits
	.globl	__hip_cuid_4bf21ff496a08bf9
__hip_cuid_4bf21ff496a08bf9:
	.byte	0                               ; 0x0
	.size	__hip_cuid_4bf21ff496a08bf9, 1

	.ident	"AMD clang version 19.0.0git (https://github.com/RadeonOpenCompute/llvm-project roc-6.4.0 25133 c7fe45cf4b819c5991fe208aaa96edf142730f1d)"
	.section	".note.GNU-stack","",@progbits
	.addrsig
	.addrsig_sym __hip_cuid_4bf21ff496a08bf9
	.amdgpu_metadata
---
amdhsa.kernels:
  - .args:
      - .actual_access:  read_only
        .address_space:  global
        .offset:         0
        .size:           8
        .value_kind:     global_buffer
      - .offset:         8
        .size:           8
        .value_kind:     by_value
      - .actual_access:  read_only
        .address_space:  global
        .offset:         16
        .size:           8
        .value_kind:     global_buffer
      - .actual_access:  read_only
        .address_space:  global
        .offset:         24
        .size:           8
        .value_kind:     global_buffer
      - .actual_access:  read_only
        .address_space:  global
        .offset:         32
        .size:           8
        .value_kind:     global_buffer
      - .offset:         40
        .size:           8
        .value_kind:     by_value
      - .actual_access:  read_only
        .address_space:  global
        .offset:         48
        .size:           8
        .value_kind:     global_buffer
      - .actual_access:  read_only
        .address_space:  global
        .offset:         56
        .size:           8
        .value_kind:     global_buffer
      - .offset:         64
        .size:           4
        .value_kind:     by_value
      - .actual_access:  read_only
        .address_space:  global
        .offset:         72
        .size:           8
        .value_kind:     global_buffer
      - .actual_access:  read_only
        .address_space:  global
        .offset:         80
        .size:           8
        .value_kind:     global_buffer
      - .actual_access:  read_only
        .address_space:  global
        .offset:         88
        .size:           8
        .value_kind:     global_buffer
      - .actual_access:  write_only
        .address_space:  global
        .offset:         96
        .size:           8
        .value_kind:     global_buffer
    .group_segment_fixed_size: 0
    .kernarg_segment_align: 8
    .kernarg_segment_size: 104
    .language:       OpenCL C
    .language_version:
      - 2
      - 0
    .max_flat_workgroup_size: 60
    .name:           fft_rtc_fwd_len150_factors_10_5_3_wgs_60_tpt_5_halfLds_sp_op_CI_CI_unitstride_sbrr_R2C_dirReg
    .private_segment_fixed_size: 0
    .sgpr_count:     41
    .sgpr_spill_count: 0
    .symbol:         fft_rtc_fwd_len150_factors_10_5_3_wgs_60_tpt_5_halfLds_sp_op_CI_CI_unitstride_sbrr_R2C_dirReg.kd
    .uniform_work_group_size: 1
    .uses_dynamic_stack: false
    .vgpr_count:     144
    .vgpr_spill_count: 0
    .wavefront_size: 32
    .workgroup_processor_mode: 1
amdhsa.target:   amdgcn-amd-amdhsa--gfx1201
amdhsa.version:
  - 1
  - 2
...

	.end_amdgpu_metadata
